;; amdgpu-corpus repo=ROCm/aiter kind=harvested arch=n/a opt=n/a

/root/src/amdgpu-assembly/repos/ROCm__aiter/hsa/gfx942/pa_a16w8_f16.co:	file format elf64-amdgpu

Disassembly of section .text:

0000000000001900 <pa_kernel_func>:
	s_and_b32 s1, s1, 0xffff                                   // 000000001900: 8601FF01 0000FFFF
	s_load_dwordx2 s[8:9], s[0:1], 0x0                         // 000000001908: C0060200 00000000
	s_load_dwordx2 s[12:13], s[0:1], 0x10                      // 000000001910: C0060300 00000010
	s_load_dwordx2 s[16:17], s[0:1], 0x20                      // 000000001918: C0060400 00000020
	s_load_dwordx2 s[20:21], s[0:1], 0x30                      // 000000001920: C0060500 00000030
	s_load_dwordx2 s[24:25], s[0:1], 0x40                      // 000000001928: C0060600 00000040
	s_load_dwordx2 s[28:29], s[0:1], 0x50                      // 000000001930: C0060700 00000050
	s_load_dwordx2 s[32:33], s[0:1], 0x60                      // 000000001938: C0060800 00000060
	s_load_dwordx2 s[36:37], s[0:1], 0x70                      // 000000001940: C0060900 00000070
	s_load_dword s64, s[0:1], 0x80                             // 000000001948: C0021000 00000080
	s_load_dword s65, s[0:1], 0x90                             // 000000001950: C0021040 00000090
	s_load_dword s66, s[0:1], 0xa0                             // 000000001958: C0021080 000000A0
	s_load_dword s67, s[0:1], 0xb0                             // 000000001960: C00210C0 000000B0
	s_load_dword s68, s[0:1], 0xc0                             // 000000001968: C0021100 000000C0
	s_load_dword s69, s[0:1], 0xd0                             // 000000001970: C0021140 000000D0
	v_lshrrev_b32_e32 v1, 10, v0                               // 000000001978: 2002008A
	v_lshrrev_b32_e32 v2, 10, v1                               // 00000000197C: 2004028A
	v_and_b32_e32 v2, 0x3ff, v2                                // 000000001980: 260404FF 000003FF
	v_and_b32_e32 v1, 0x3ff, v1                                // 000000001988: 260202FF 000003FF
	v_and_b32_e32 v0, 0x3ff, v0                                // 000000001990: 260000FF 000003FF
	v_lshrrev_b32_e32 v3, 6, v0                                // 000000001998: 20060086
	v_and_b32_e32 v0, 63, v0                                   // 00000000199C: 260000BF
	s_mov_b32 s2, s2                                           // 0000000019A0: BE820002
	s_mov_b32 s3, s3                                           // 0000000019A4: BE830003
	s_mov_b32 s4, s4                                           // 0000000019A8: BE840004
	v_readfirstlane_b32 s7, v3                                 // 0000000019AC: 7E0E0503
	s_waitcnt lgkmcnt(0)                                       // 0000000019B0: BF8CC07F
	s_mul_i32 s60, s3, 4                                       // 0000000019B4: 923C8403
	s_and_b32 s29, s29, 0xffff                                 // 0000000019B8: 861DFF1D 0000FFFF
	s_add_u32 s28, s60, s28                                    // 0000000019C0: 801C1C3C
	s_addc_u32 s29, 0, s29                                     // 0000000019C4: 821D1D80
	s_load_dword s72, s[28:29], 0x0                            // 0000000019C8: C002120E 00000000
	s_mov_b32 s10, s67                                         // 0000000019D0: BE8A0043
	s_mov_b32 s14, s67                                         // 0000000019D4: BE8E0043
	s_mul_i32 s60, 4, s65                                      // 0000000019D8: 923C4184
	s_mov_b32 s26, s60                                         // 0000000019DC: BE9A003C
	s_mov_b32 s34, 0x80000000                                  // 0000000019E0: BEA200FF 80000000
	s_mov_b32 s38, 0x80000000                                  // 0000000019E8: BEA600FF 80000000
	s_mov_b32 s18, 0x80000000                                  // 0000000019F0: BE9200FF 80000000
	s_mov_b32 s22, 0x80000000                                  // 0000000019F8: BE9600FF 80000000
	s_mov_b32 s11, 0x20000                                     // 000000001A00: BE8B00FF 00020000
	s_mov_b32 s15, 0x20000                                     // 000000001A08: BE8F00FF 00020000
	s_mov_b32 s19, 0x20000                                     // 000000001A10: BE9300FF 00020000
	s_mov_b32 s23, 0x20000                                     // 000000001A18: BE9700FF 00020000
	s_mov_b32 s27, 0x20000                                     // 000000001A20: BE9B00FF 00020000
	s_mov_b32 s35, 0x20000                                     // 000000001A28: BEA300FF 00020000
	s_mov_b32 s39, 0x20000                                     // 000000001A30: BEA700FF 00020000
	s_and_b32 s9, s9, 0xffff                                   // 000000001A38: 8609FF09 0000FFFF
	s_and_b32 s13, s13, 0xffff                                 // 000000001A40: 860DFF0D 0000FFFF
	s_and_b32 s17, s17, 0xffff                                 // 000000001A48: 8611FF11 0000FFFF
	s_and_b32 s21, s21, 0xffff                                 // 000000001A50: 8615FF15 0000FFFF
	s_and_b32 s25, s25, 0xffff                                 // 000000001A58: 8619FF19 0000FFFF
	s_and_b32 s33, s33, 0xffff                                 // 000000001A60: 8621FF21 0000FFFF
	s_and_b32 s37, s37, 0xffff                                 // 000000001A68: 8625FF25 0000FFFF
	s_or_b32 s9, s9, 0x40000                                   // 000000001A70: 8709FF09 00040000
	s_or_b32 s13, s13, 0x40000                                 // 000000001A78: 870DFF0D 00040000
	s_or_b32 s17, s17, 0x40000                                 // 000000001A80: 8711FF11 00040000
	s_or_b32 s21, s21, 0x40000                                 // 000000001A88: 8715FF15 00040000
	s_or_b32 s25, s25, 0x40000                                 // 000000001A90: 8719FF19 00040000
	s_or_b32 s33, s33, 0x40000                                 // 000000001A98: 8721FF21 00040000
	s_or_b32 s37, s37, 0x40000                                 // 000000001AA0: 8725FF25 00040000
	s_mul_i32 s60, s3, s65                                     // 000000001AA8: 923C4103
	s_mul_i32 s60, s60, 4                                      // 000000001AAC: 923C843C
	s_add_u32 s24, s60, s24                                    // 000000001AB0: 8018183C
	s_addc_u32 s25, 0, s25                                     // 000000001AB4: 82191980
	s_mov_b32 s56, 64                                          // 000000001AB8: BEB800C0
	s_waitcnt lgkmcnt(0)                                       // 000000001ABC: BF8CC07F
	s_add_u32 s52, s72, 15                                     // 000000001AC0: 80348F48
	s_lshr_b32 s52, s52, 4                                     // 000000001AC4: 8F348434
	s_mul_i32 s60, s52, 4                                      // 000000001AC8: 923C8434
	s_mov_b32 s26, s60                                         // 000000001ACC: BE9A003C
	v_and_b32_e32 v39, 3, v0                                   // 000000001AD0: 264E0083
	v_cmp_eq_u32_e64 s[60:61], 0, v39                          // 000000001AD4: D0CA003C 00024E80
	v_and_b32_e32 v38, 12, v0                                  // 000000001ADC: 264C008C
	v_add_u32_e32 v1, s7, v38                                  // 000000001AE0: 68024C07
	v_cndmask_b32_e64 v1, 0, v1, s[60:61]                      // 000000001AE4: D1000001 00F20280
	v_and_b32_e32 v39, 3, v0                                   // 000000001AEC: 264E0083
	v_cmp_eq_u32_e64 s[60:61], 1, v39                          // 000000001AF0: D0CA003C 00024E81
	v_lshrrev_b32_e32 v38, 4, v0                               // 000000001AF8: 204C0084
	v_and_b32_e32 v39, 12, v0                                  // 000000001AFC: 264E008C
	v_add_u32_e32 v38, v39, v38                                // 000000001B00: 684C4D27
	v_cndmask_b32_e64 v38, 0, v38, s[60:61]                    // 000000001B04: D1000026 00F24C80
	v_add_u32_e32 v1, v1, v38                                  // 000000001B0C: 68024D01
	v_lshlrev_b32_e32 v1, 2, v1                                // 000000001B10: 24020282
	buffer_load_dword v16, v1, s[24:27], 0 offen               // 000000001B14: E0501000 80061001
	v_add_u32_e32 v1, s56, v1                                  // 000000001B1C: 68020238
	buffer_load_dword v17, v1, s[24:27], 0 offen               // 000000001B20: E0501000 80061101
	s_cmp_le_u32 s52, 32                                       // 000000001B28: BF0BA034
	s_cselect_b32 s56, 0, s56                                  // 000000001B2C: 85383880
	s_mul_i32 s60, s3, s67                                     // 000000001B30: 923C4303
	s_add_u32 s12, s60, s12                                    // 000000001B34: 800C0C3C
	s_addc_u32 s13, 0, s13                                     // 000000001B38: 820D0D80
	s_mul_i32 s60, s7, 0x108                                   // 000000001B3C: 923CFF07 00000108
	s_add_u32 m0, 0, s60                                       // 000000001B44: 807C3C80
	s_mul_i32 s60, s7, 0x100                                   // 000000001B48: 923CFF07 00000100
	v_lshlrev_b32_e32 v38, 2, v0                               // 000000001B50: 244C0082
	v_add_u32_e64 v38, v38, s60                                // 000000001B54: D1340026 00007926
	buffer_load_dword v38, s[12:15], 0 offen lds               // 000000001B5C: E0511000 80030026
	s_mul_i32 s60, 4, 0x108                                    // 000000001B64: 923CFF84 00000108
	s_add_u32 m0, m0, s60                                      // 000000001B6C: 807C3C7C
	v_add_u32_e32 v38, 0x400, v38                              // 000000001B70: 684C4CFF 00000400
	buffer_load_dword v38, s[12:15], 0 offen lds               // 000000001B78: E0511000 80030026
	s_mul_i32 s60, 4, 0x108                                    // 000000001B80: 923CFF84 00000108
	s_add_u32 m0, m0, s60                                      // 000000001B88: 807C3C7C
	v_add_u32_e32 v38, 0x400, v38                              // 000000001B8C: 684C4CFF 00000400
	s_mul_i32 s60, s7, 0x108                                   // 000000001B94: 923CFF07 00000108
	v_lshlrev_b32_e32 v38, 2, v0                               // 000000001B9C: 244C0082
	v_add_u32_e64 v38, v38, s60                                // 000000001BA0: D1340026 00007926
	v_mov_b32_e32 v39, 0                                       // 000000001BA8: 7E4E0280
	ds_write_b32 v38, v39 offset:2112                          // 000000001BAC: D81A0840 00002726
	ds_write_b32 v38, v39 offset:3168                          // 000000001BB4: D81A0C60 00002726
	v_lshrrev_b32_e32 v38, 4, v0                               // 000000001BBC: 204C0084
	v_lshlrev_b32_e32 v38, 2, v38                              // 000000001BC0: 244C4C82
	v_and_b32_e32 v39, 3, v0                                   // 000000001BC4: 264E0083
	v_add_u32_e32 v38, v39, v38                                // 000000001BC8: 684C4D27
	v_lshlrev_b32_e32 v57, 2, v38                              // 000000001BCC: 24724C82
	v_mov_b32_e32 v58, v57                                     // 000000001BD0: 7E740339
	s_mul_i32 s60, s3, s67                                     // 000000001BD4: 923C4303
	s_add_u32 s8, s60, s8                                      // 000000001BD8: 8008083C
	s_addc_u32 s9, 0, s9                                       // 000000001BDC: 82090980
	s_mul_i32 s60, s7, 0x100                                   // 000000001BE0: 923CFF07 00000100
	v_lshlrev_b32_e32 v8, 2, v0                                // 000000001BE8: 24100082
	v_add_u32_e64 v8, v8, s60                                  // 000000001BEC: D1340008 00007908
	s_mov_b32 s70, 0                                           // 000000001BF4: BEC60080
	s_and_b32 s71, s72, 0xffffff00                             // 000000001BF8: 8647FF48 FFFFFF00
	s_mov_b32 s42, 0xff00ff00                                  // 000000001C00: BEAA00FF FF00FF00
	s_mov_b32 s43, 0xff00ff00                                  // 000000001C08: BEAB00FF FF00FF00
	s_mov_b32 s44, 0xf0f0f0f0                                  // 000000001C10: BEAC00FF F0F0F0F0
	s_mov_b32 s45, 0xf0f0f0f0                                  // 000000001C18: BEAD00FF F0F0F0F0
	v_mov_b32_e32 v61, 64                                      // 000000001C20: 7E7A02C0
	v_mov_b32_e32 v51, s68                                     // 000000001C24: 7E660244
	v_mov_b32_e32 v9, -1                                       // 000000001C28: 7E1202C1
	s_mov_b32 s53, 0x400                                       // 000000001C2C: BEB500FF 00000400
	s_mov_b32 s54, 0x40100                                     // 000000001C34: BEB600FF 00040100
	s_mov_b32 s55, 0x4020100                                   // 000000001C3C: BEB700FF 04020100
	v_mov_b32_dpp v9, v9 row_shl:8 row_mask:0xf bank_mask:0xf bound_ctrl:1// 000000001C44: 7E1202FA FF090809
	s_mov_b32 s6, 0x3fb8aa3b                                   // 000000001C4C: BE8600FF 3FB8AA3B
	v_mov_b32_e32 v14, 0xff800000                              // 000000001C54: 7E1C02FF FF800000
	v_mov_b32_e32 v52, 0xff800000                              // 000000001C5C: 7E6802FF FF800000
	v_mov_b32_e32 v49, 0                                       // 000000001C64: 7E620280
	v_mov_b32_e32 v42, 0                                       // 000000001C68: 7E540280
	v_mov_b32_e32 v47, 0                                       // 000000001C6C: 7E5E0280
	v_add_u32_e32 v1, s56, v1                                  // 000000001C70: 68020238
	v_and_b32_e32 v10, 15, v0                                  // 000000001C74: 2614008F
	v_lshlrev_b32_e32 v10, 2, v10                              // 000000001C78: 24141482
	v_lshlrev_b32_e32 v11, 2, v0                               // 000000001C7C: 24160082
	s_mul_i32 s60, 0x100, s7                                   // 000000001C80: 923C07FF 00000100
	v_add_u32_e32 v11, s60, v11                                // 000000001C88: 6816163C
	v_lshrrev_b32_e32 v38, 4, v0                               // 000000001C8C: 204C0084
	v_lshlrev_b32_e32 v39, 6, v38                              // 000000001C90: 244E4C86
	v_and_b32_e32 v38, 15, v0                                  // 000000001C94: 264C008F
	v_lshlrev_b32_e32 v38, 1, v38                              // 000000001C98: 244C4C81
	v_add_u32_e32 v39, v38, v39                                // 000000001C9C: 684E4F26
	v_lshlrev_b32_e32 v12, 2, v39                              // 000000001CA0: 24184E82
	v_lshrrev_b32_e32 v38, 5, v0                               // 000000001CA4: 204C0085
	v_lshlrev_b32_e32 v39, 5, v38                              // 000000001CA8: 244E4C85
	v_and_b32_e32 v38, 31, v0                                  // 000000001CAC: 264C009F
	v_lshrrev_b32_e32 v40, 4, v38                              // 000000001CB0: 20504C84
	v_add_u32_e32 v39, v40, v39                                // 000000001CB4: 684E4F28
	v_and_b32_e32 v38, 15, v0                                  // 000000001CB8: 264C008F
	v_lshlrev_b32_e32 v38, 1, v38                              // 000000001CBC: 244C4C81
	v_add_u32_e32 v39, v38, v39                                // 000000001CC0: 684E4F26
	v_lshlrev_b32_e32 v38, 2, v39                              // 000000001CC4: 244C4E82
	s_mul_i32 s60, 0x100, s7                                   // 000000001CC8: 923C07FF 00000100
	v_add_u32_e64 v13, v38, s60                                // 000000001CD0: D134000D 00007926
	v_lshlrev_b32_e32 v6, 4, v0                                // 000000001CD8: 240C0084
	v_and_b32_e32 v38, 15, v0                                  // 000000001CDC: 264C008F
	v_lshlrev_b32_e32 v7, 4, v38                               // 000000001CE0: 240E4C84
	s_mul_i32 s60, s7, 0x100                                   // 000000001CE4: 923CFF07 00000100
	s_add_u32 s20, s60, s20                                    // 000000001CEC: 8014143C
	s_addc_u32 s21, 0, s21                                     // 000000001CF0: 82151580
	s_waitcnt vmcnt(2)                                         // 000000001CF4: BF8C0F72
	v_mul_u32_u24_dpp v38, v16, v51 row_newbcast:0 row_mask:0xf bank_mask:0xf// 000000001CF8: 104C66FA FF015010
	v_mul_u32_u24_dpp v39, v16, v51 row_newbcast:4 row_mask:0xf bank_mask:0xf// 000000001D00: 104E66FA FF015410
	v_mul_u32_u24_dpp v40, v16, v51 row_newbcast:8 row_mask:0xf bank_mask:0xf// 000000001D08: 105066FA FF015810
	v_mul_u32_u24_dpp v41, v16, v51 row_newbcast:12 row_mask:0xf bank_mask:0xf// 000000001D10: 105266FA FF015C10
	v_add_u32_e32 v22, v38, v6                                 // 000000001D18: 682C0D26
	v_add_u32_e32 v23, v39, v6                                 // 000000001D1C: 682E0D27
	v_add_u32_e32 v24, v40, v6                                 // 000000001D20: 68300D28
	v_add_u32_e32 v25, v41, v6                                 // 000000001D24: 68320D29
	v_mul_u32_u24_dpp v38, v16, v51 row_newbcast:1 row_mask:0xf bank_mask:0xf// 000000001D28: 104C66FA FF015110
	v_mul_u32_u24_dpp v39, v16, v51 row_newbcast:5 row_mask:0xf bank_mask:0xf// 000000001D30: 104E66FA FF015510
	v_mul_u32_u24_dpp v40, v16, v51 row_newbcast:9 row_mask:0xf bank_mask:0xf// 000000001D38: 105066FA FF015910
	v_mul_u32_u24_dpp v41, v16, v51 row_newbcast:13 row_mask:0xf bank_mask:0xf// 000000001D40: 105266FA FF015D10
	v_add_u32_e32 v30, v38, v7                                 // 000000001D48: 683C0F26
	v_add_u32_e32 v31, v39, v7                                 // 000000001D4C: 683E0F27
	v_add_u32_e32 v32, v40, v7                                 // 000000001D50: 68400F28
	v_add_u32_e32 v33, v41, v7                                 // 000000001D54: 68420F29
	v_mul_u32_u24_dpp v38, v16, v61 quad_perm:[0,0,0,0] row_mask:0xf bank_mask:0xf// 000000001D58: 104C7AFA FF000010
	v_add_u32_e32 v2, v38, v57                                 // 000000001D60: 68047326
	v_mul_u32_u24_dpp v38, v16, v61 quad_perm:[0,0,0,0] row_mask:0xf bank_mask:0xf// 000000001D64: 104C7AFA FF000010
	v_add_u32_e32 v53, v38, v58                                // 000000001D6C: 686A7526
	buffer_load_dword v44, v2, s[32:35], 0 offen               // 000000001D70: E0501000 80082C02
	buffer_load_dwordx4 a[0:3], v22, s[16:19], 0 offen         // 000000001D78: E05C1000 80840016
	buffer_load_dwordx4 a[4:7], v22, s[16:19], 0 offen offset:1024// 000000001D80: E05C1400 80840416
	buffer_load_dwordx4 a[8:11], v23, s[16:19], 0 offen        // 000000001D88: E05C1000 80840817
	buffer_load_dwordx4 a[12:15], v23, s[16:19], 0 offen offset:1024// 000000001D90: E05C1400 80840C17
	buffer_load_dwordx4 a[16:19], v24, s[16:19], 0 offen       // 000000001D98: E05C1000 80841018
	buffer_load_dwordx4 a[20:23], v24, s[16:19], 0 offen offset:1024// 000000001DA0: E05C1400 80841418
	buffer_load_dwordx4 a[24:27], v25, s[16:19], 0 offen       // 000000001DA8: E05C1000 80841819
	buffer_load_dwordx4 a[28:31], v25, s[16:19], 0 offen offset:1024// 000000001DB0: E05C1400 80841C19
	buffer_load_dword v55, v53, s[36:39], 0 offen              // 000000001DB8: E0501000 80093735
	buffer_load_dwordx4 a[64:67], v30, s[20:23], 0 offen       // 000000001DC0: E05C1000 8085401E
	buffer_load_dwordx4 a[68:71], v31, s[20:23], 0 offen       // 000000001DC8: E05C1000 8085441F
	buffer_load_dwordx4 a[72:75], v32, s[20:23], 0 offen       // 000000001DD0: E05C1000 80854820
	buffer_load_dwordx4 a[76:79], v33, s[20:23], 0 offen       // 000000001DD8: E05C1000 80854C21
	buffer_load_dwordx4 a[80:83], v30, s[20:23], 0 offen offset:1024// 000000001DE0: E05C1400 8085501E
	buffer_load_dwordx4 a[84:87], v31, s[20:23], 0 offen offset:1024// 000000001DE8: E05C1400 8085541F
	buffer_load_dwordx4 a[88:91], v32, s[20:23], 0 offen offset:1024// 000000001DF0: E05C1400 80855820
	buffer_load_dwordx4 a[92:95], v33, s[20:23], 0 offen offset:1024// 000000001DF8: E05C1400 80855C21
	v_lshrrev_b32_e32 v38, 4, v0                               // 000000001E00: 204C0084
	v_lshlrev_b32_e32 v39, 1, v38                              // 000000001E04: 244E4C81
	v_and_b32_e32 v38, 15, v0                                  // 000000001E08: 264C008F
	v_mul_i32_i24_e32 v38, 0x42, v38                           // 000000001E0C: 0C4C4CFF 00000042
	v_add_u32_e32 v39, v38, v39                                // 000000001E14: 684E4F26
	v_lshlrev_b32_e32 v4, 2, v39                               // 000000001E18: 24084E82
	s_mul_i32 s60, s7, 32                                      // 000000001E1C: 923CA007
	v_add_u32_e32 v4, s60, v4                                  // 000000001E20: 6808083C
	s_waitcnt vmcnt(16) lgkmcnt(0)                             // 000000001E24: BF8C4070
	s_barrier                                                  // 000000001E28: BF8A0000
	ds_read_b64 v[80:81], v4                                   // 000000001E2C: D8EC0000 50000004
	ds_read_b64 v[84:85], v4 offset:128                        // 000000001E34: D8EC0080 54000004
	s_waitcnt lgkmcnt(0)                                       // 000000001E3C: BF8CC07F
	v_cvt_f32_f16_sdwa v83, v81 dst_sel:DWORD dst_unused:UNUSED_PRESERVE src0_sel:WORD_1// 000000001E40: 7EA616F9 00051651
	v_cvt_f32_f16_e32 v82, v81                                 // 000000001E48: 7EA41751
	v_cvt_f32_f16_sdwa v81, v80 dst_sel:DWORD dst_unused:UNUSED_PRESERVE src0_sel:WORD_1// 000000001E4C: 7EA216F9 00051650
	v_cvt_f32_f16_e32 v80, v80                                 // 000000001E54: 7EA01750
	v_cvt_f32_f16_sdwa v87, v85 dst_sel:DWORD dst_unused:UNUSED_PRESERVE src0_sel:WORD_1// 000000001E58: 7EAE16F9 00051655
	v_cvt_f32_f16_e32 v86, v85                                 // 000000001E60: 7EAC1755
	v_cvt_f32_f16_sdwa v85, v84 dst_sel:DWORD dst_unused:UNUSED_PRESERVE src0_sel:WORD_1// 000000001E64: 7EAA16F9 00051654
	v_cvt_f32_f16_e32 v84, v84                                 // 000000001E6C: 7EA81754
	v_mov_b32_e32 v48, 0x358637bd                              // 000000001E70: 7E6002FF 358637BD
	v_max3_f32 v48, |v80|, |v81|, v48                          // 000000001E78: D1D30330 04C2A350
	v_max3_f32 v48, |v82|, |v83|, v48                          // 000000001E80: D1D30330 04C2A752
	v_max3_f32 v48, |v84|, |v85|, v48                          // 000000001E88: D1D30330 04C2AB54
	v_max3_f32 v48, |v86|, |v87|, v48                          // 000000001E90: D1D30330 04C2AF56
	ds_write_b32 v11, v48 offset:4224                          // 000000001E98: D81A1080 0000300B
	s_waitcnt lgkmcnt(0)                                       // 000000001EA0: BF8CC07F
	s_barrier                                                  // 000000001EA4: BF8A0000
	ds_read_b32 v64, v10 offset:4224                           // 000000001EA8: D86C1080 4000000A
	ds_read_b32 v65, v10 offset:4288                           // 000000001EB0: D86C10C0 4100000A
	ds_read_b32 v66, v10 offset:4352                           // 000000001EB8: D86C1100 4200000A
	ds_read_b32 v67, v10 offset:4416                           // 000000001EC0: D86C1140 4300000A
	ds_read_b32 v68, v10 offset:4480                           // 000000001EC8: D86C1180 4400000A
	ds_read_b32 v69, v10 offset:4544                           // 000000001ED0: D86C11C0 4500000A
	ds_read_b32 v70, v10 offset:4608                           // 000000001ED8: D86C1200 4600000A
	ds_read_b32 v71, v10 offset:4672                           // 000000001EE0: D86C1240 4700000A
	ds_read_b32 v72, v10 offset:4736                           // 000000001EE8: D86C1280 4800000A
	ds_read_b32 v73, v10 offset:4800                           // 000000001EF0: D86C12C0 4900000A
	ds_read_b32 v74, v10 offset:4864                           // 000000001EF8: D86C1300 4A00000A
	ds_read_b32 v75, v10 offset:4928                           // 000000001F00: D86C1340 4B00000A
	ds_read_b32 v76, v10 offset:4992                           // 000000001F08: D86C1380 4C00000A
	ds_read_b32 v77, v10 offset:5056                           // 000000001F10: D86C13C0 4D00000A
	ds_read_b32 v78, v10 offset:5120                           // 000000001F18: D86C1400 4E00000A
	ds_read_b32 v79, v10 offset:5184                           // 000000001F20: D86C1440 4F00000A
	s_waitcnt lgkmcnt(0)                                       // 000000001F28: BF8CC07F
	v_max3_f32 v48, |v64|, |v65|, v48                          // 000000001F2C: D1D30330 04C28340
	v_max3_f32 v48, |v66|, |v67|, v48                          // 000000001F34: D1D30330 04C28742
	v_max3_f32 v48, |v68|, |v69|, v48                          // 000000001F3C: D1D30330 04C28B44
	v_max3_f32 v48, |v70|, |v71|, v48                          // 000000001F44: D1D30330 04C28F46
	v_max3_f32 v48, |v72|, |v73|, v48                          // 000000001F4C: D1D30330 04C29348
	v_max3_f32 v48, |v74|, |v75|, v48                          // 000000001F54: D1D30330 04C2974A
	v_max3_f32 v48, |v76|, |v77|, v48                          // 000000001F5C: D1D30330 04C29B4C
	v_max3_f32 v48, |v78|, |v79|, v48                          // 000000001F64: D1D30330 04C29F4E
	v_rcp_f32_e32 v48, v48                                     // 000000001F6C: 7E604530
	s_nop 1                                                    // 000000001F70: BF800001
	v_mul_f32_e32 v48, 0x42fe0000, v48                         // 000000001F74: 0A6060FF 42FE0000
	v_mul_f32_e32 v80, v48, v80                                // 000000001F7C: 0AA0A130
	v_mul_f32_e32 v81, v48, v81                                // 000000001F80: 0AA2A330
	v_mul_f32_e32 v82, v48, v82                                // 000000001F84: 0AA4A530
	v_mul_f32_e32 v83, v48, v83                                // 000000001F88: 0AA6A730
	v_mul_f32_e32 v84, v48, v84                                // 000000001F8C: 0AA8A930
	v_mul_f32_e32 v85, v48, v85                                // 000000001F90: 0AAAAB30
	v_mul_f32_e32 v86, v48, v86                                // 000000001F94: 0AACAD30
	v_mul_f32_e32 v87, v48, v87                                // 000000001F98: 0AAEAF30
	v_cvt_i32_f32_e32 v80, v80                                 // 000000001F9C: 7EA01150
	v_cvt_i32_f32_e32 v81, v81                                 // 000000001FA0: 7EA21151
	v_cvt_i32_f32_e32 v82, v82                                 // 000000001FA4: 7EA41152
	v_cvt_i32_f32_e32 v83, v83                                 // 000000001FA8: 7EA61153
	v_cvt_i32_f32_e32 v84, v84                                 // 000000001FAC: 7EA81154
	v_cvt_i32_f32_e32 v85, v85                                 // 000000001FB0: 7EAA1155
	v_cvt_i32_f32_e32 v86, v86                                 // 000000001FB4: 7EAC1156
	v_cvt_i32_f32_e32 v87, v87                                 // 000000001FB8: 7EAE1157
	v_rcp_f32_e32 v46, v48                                     // 000000001FBC: 7E5C4530
	v_perm_b32 v80, v81, v80, s53                              // 000000001FC0: D1ED0050 00D6A151
	v_perm_b32 v80, v82, v80, s54                              // 000000001FC8: D1ED0050 00DAA152
	v_perm_b32 v80, v83, v80, s55                              // 000000001FD0: D1ED0050 00DEA153
	v_perm_b32 v81, v85, v84, s53                              // 000000001FD8: D1ED0051 00D6A955
	v_perm_b32 v81, v86, v81, s54                              // 000000001FE0: D1ED0051 00DAA356
	v_perm_b32 v81, v87, v81, s55                              // 000000001FE8: D1ED0051 00DEA357
	ds_write_b32 v13, v80 offset:6272                          // 000000001FF0: D81A1880 0000500D
	ds_write_b32 v13, v81 offset:7296                          // 000000001FF8: D81A1C80 0000510D
	s_waitcnt lgkmcnt(0)                                       // 000000002000: BF8CC07F
	s_barrier                                                  // 000000002004: BF8A0000
	v_and_b32_e32 v46, v9, v46                                 // 000000002008: 265C5D09
	ds_read_b64 v[80:81], v12 offset:6272                      // 00000000200C: D8EC1880 5000000C
	ds_read_b64 v[82:83], v12 offset:6400                      // 000000002014: D8EC1900 5200000C
	ds_read_b64 v[84:85], v12 offset:7296                      // 00000000201C: D8EC1C80 5400000C
	ds_read_b64 v[86:87], v12 offset:7424                      // 000000002024: D8EC1D00 5600000C
	v_mov_b32_e32 v112, 0                                      // 00000000202C: 7EE00280
	v_mov_b32_e32 v113, 0                                      // 000000002030: 7EE20280
	v_mov_b32_e32 v114, 0                                      // 000000002034: 7EE40280
	v_mov_b32_e32 v115, 0                                      // 000000002038: 7EE60280
	v_mov_b32_e32 v104, 0                                      // 00000000203C: 7ED00280
	v_mov_b32_e32 v105, 0                                      // 000000002040: 7ED20280
	v_mov_b32_e32 v106, 0                                      // 000000002044: 7ED40280
	v_mov_b32_e32 v107, 0                                      // 000000002048: 7ED60280
	v_mov_b32_e32 v108, 0                                      // 00000000204C: 7ED80280
	v_mov_b32_e32 v109, 0                                      // 000000002050: 7EDA0280
	v_mov_b32_e32 v110, 0                                      // 000000002054: 7EDC0280
	v_mov_b32_e32 v111, 0                                      // 000000002058: 7EDE0280
	v_or_b32_dpp v46, v46, v46 row_shr:8 row_mask:0xf bank_mask:0xf bound_ctrl:1// 00000000205C: 285C5CFA FF09182E
	s_waitcnt vmcnt(8) lgkmcnt(0)                              // 000000002064: BF8C0078
	s_barrier                                                  // 000000002068: BF8A0000
	s_cmp_lt_u32 s52, 16                                       // 00000000206C: BF0A9034
	s_cbranch_scc1 label_09B7                                  // 000000002070: BF8507CF
	s_cmp_lt_i32 s7, 2                                         // 000000002074: BF048207
	s_cbranch_scc0 label_05D2                                  // 000000002078: BF8403E8

000000000000207c <label_01EA>:
	s_waitcnt vmcnt(8) lgkmcnt(0)                              // 00000000207C: BF8C0078
	v_mul_u32_u24_dpp v38, v17, v51 row_newbcast:0 row_mask:0xf bank_mask:0xf// 000000002080: 104C66FA FF015011
	v_mul_u32_u24_dpp v39, v17, v51 row_newbcast:4 row_mask:0xf bank_mask:0xf// 000000002088: 104E66FA FF015411
	v_mul_u32_u24_dpp v40, v17, v51 row_newbcast:8 row_mask:0xf bank_mask:0xf// 000000002090: 105066FA FF015811
	v_mul_u32_u24_dpp v41, v17, v51 row_newbcast:12 row_mask:0xf bank_mask:0xf// 000000002098: 105266FA FF015C11
	v_add_u32_e32 v26, v38, v6                                 // 0000000020A0: 68340D26
	v_add_u32_e32 v27, v39, v6                                 // 0000000020A4: 68360D27
	v_add_u32_e32 v28, v40, v6                                 // 0000000020A8: 68380D28
	v_add_u32_e32 v29, v41, v6                                 // 0000000020AC: 683A0D29
	v_mul_u32_u24_dpp v38, v17, v61 quad_perm:[0,0,0,0] row_mask:0xf bank_mask:0xf// 0000000020B0: 104C7AFA FF000011
	v_add_u32_e32 v3, v38, v57                                 // 0000000020B8: 68067326
	v_mul_u32_u24_dpp v38, v17, v61 quad_perm:[0,0,0,0] row_mask:0xf bank_mask:0xf// 0000000020BC: 104C7AFA FF000011
	v_add_u32_e32 v54, v38, v58                                // 0000000020C4: 686C7526
	v_mfma_i32_16x16x32_i8 v[88:91], a[0:1], v[80:81], 0       // 0000000020C8: D3D70058 0A02A100
	v_mfma_i32_16x16x32_i8 v[88:91], a[2:3], v[82:83], v[88:91]// 0000000020D0: D3D70058 0D62A502
	buffer_load_dwordx4 a[32:35], v26, s[16:19], 0 offen       // 0000000020D8: E05C1000 8084201A
	v_mfma_i32_16x16x32_i8 v[88:91], a[4:5], v[84:85], v[88:91]// 0000000020E0: D3D70058 0D62A904
	v_mfma_i32_16x16x32_i8 v[88:91], a[6:7], v[86:87], v[88:91]// 0000000020E8: D3D70058 0D62AD06
	buffer_load_dword v16, v1, s[24:27], 0 offen               // 0000000020F0: E0501000 80061001
	v_mfma_i32_16x16x32_i8 v[92:95], a[8:9], v[80:81], 0       // 0000000020F8: D3D7005C 0A02A108
	v_mfma_i32_16x16x32_i8 v[92:95], a[10:11], v[82:83], v[92:95]// 000000002100: D3D7005C 0D72A50A
	buffer_load_dwordx4 a[36:39], v26, s[16:19], 0 offen offset:1024// 000000002108: E05C1400 8084241A
	v_mfma_i32_16x16x32_i8 v[92:95], a[12:13], v[84:85], v[92:95]// 000000002110: D3D7005C 0D72A90C
	v_mfma_i32_16x16x32_i8 v[92:95], a[14:15], v[86:87], v[92:95]// 000000002118: D3D7005C 0D72AD0E
	v_mfma_i32_16x16x32_i8 v[96:99], a[16:17], v[80:81], 0     // 000000002120: D3D70060 0A02A110
	v_mfma_i32_16x16x32_i8 v[96:99], a[18:19], v[82:83], v[96:99]// 000000002128: D3D70060 0D82A512
	buffer_load_dwordx4 a[40:43], v27, s[16:19], 0 offen       // 000000002130: E05C1000 8084281B
	v_mfma_i32_16x16x32_i8 v[96:99], a[20:21], v[84:85], v[96:99]// 000000002138: D3D70060 0D82A914
	v_mfma_i32_16x16x32_i8 v[96:99], a[22:23], v[86:87], v[96:99]// 000000002140: D3D70060 0D82AD16
	v_mfma_i32_16x16x32_i8 v[100:103], a[24:25], v[80:81], 0   // 000000002148: D3D70064 0A02A118
	v_mfma_i32_16x16x32_i8 v[100:103], a[26:27], v[82:83], v[100:103]// 000000002150: D3D70064 0D92A51A
	buffer_load_dwordx4 a[44:47], v27, s[16:19], 0 offen offset:1024// 000000002158: E05C1400 80842C1B
	v_mfma_i32_16x16x32_i8 v[100:103], a[28:29], v[84:85], v[100:103]// 000000002160: D3D70064 0D92A91C
	v_mfma_i32_16x16x32_i8 v[100:103], a[30:31], v[86:87], v[100:103]// 000000002168: D3D70064 0D92AD1E
	buffer_load_dword v45, v3, s[32:35], 0 offen               // 000000002170: E0501000 80082D03
	v_mov_b32_dpp v38, v44 row_shr:4 row_mask:0xf bank_mask:0xf// 000000002178: 7E4C02FA FF01142C
	v_mov_b32_dpp v39, v44 row_shl:4 row_mask:0xf bank_mask:0xf// 000000002180: 7E4E02FA FF01042C
	v_cndmask_b32_e64 v124, v44, v38, s[44:45]                 // 000000002188: D100007C 00B24D2C
	v_cndmask_b32_e64 v125, v39, v44, s[44:45]                 // 000000002190: D100007D 00B25927
	v_mov_b32_dpp v38, v55 row_shr:4 row_mask:0xf bank_mask:0xf// 000000002198: 7E4C02FA FF011437
	v_mov_b32_dpp v39, v55 row_shl:4 row_mask:0xf bank_mask:0xf// 0000000021A0: 7E4E02FA FF010437
	v_cndmask_b32_e64 v126, v55, v38, s[44:45]                 // 0000000021A8: D100007E 00B24D37
	v_cndmask_b32_e64 v127, v39, v55, s[44:45]                 // 0000000021B0: D100007F 00B26F27
	v_or_b32_dpp v88, v96, v88 row_shr:8 row_mask:0xf bank_mask:0xf bound_ctrl:1// 0000000021B8: 28B0B0FA FF091860
	v_or_b32_dpp v89, v97, v89 row_shr:8 row_mask:0xf bank_mask:0xf bound_ctrl:1// 0000000021C0: 28B2B2FA FF091861
	v_or_b32_dpp v90, v98, v90 row_shr:8 row_mask:0xf bank_mask:0xf bound_ctrl:1// 0000000021C8: 28B4B4FA FF091862
	v_or_b32_dpp v91, v99, v91 row_shr:8 row_mask:0xf bank_mask:0xf bound_ctrl:1// 0000000021D0: 28B6B6FA FF091863
	v_or_b32_dpp v92, v100, v92 row_shr:8 row_mask:0xf bank_mask:0xf bound_ctrl:1// 0000000021D8: 28B8B8FA FF091864
	v_or_b32_dpp v93, v101, v93 row_shr:8 row_mask:0xf bank_mask:0xf bound_ctrl:1// 0000000021E0: 28BABAFA FF091865
	v_or_b32_dpp v94, v102, v94 row_shr:8 row_mask:0xf bank_mask:0xf bound_ctrl:1// 0000000021E8: 28BCBCFA FF091866
	v_or_b32_dpp v95, v103, v95 row_shr:8 row_mask:0xf bank_mask:0xf bound_ctrl:1// 0000000021F0: 28BEBEFA FF091867
	buffer_load_dword v56, v54, s[36:39], 0 offen              // 0000000021F8: E0501000 80093836
	v_cvt_f32_i32_e32 v88, v88                                 // 000000002200: 7EB00B58
	v_cvt_f32_i32_e32 v89, v89                                 // 000000002204: 7EB20B59
	v_cvt_f32_i32_e32 v90, v90                                 // 000000002208: 7EB40B5A
	v_cvt_f32_i32_e32 v91, v91                                 // 00000000220C: 7EB60B5B
	v_cvt_f32_i32_e32 v92, v92                                 // 000000002210: 7EB80B5C
	v_cvt_f32_i32_e32 v93, v93                                 // 000000002214: 7EBA0B5D
	v_cvt_f32_i32_e32 v94, v94                                 // 000000002218: 7EBC0B5E
	v_cvt_f32_i32_e32 v95, v95                                 // 00000000221C: 7EBE0B5F
	v_mul_f32_e32 v88, v46, v88                                // 000000002220: 0AB0B12E
	v_mul_f32_e32 v89, v46, v89                                // 000000002224: 0AB2B32E
	v_mul_f32_e32 v90, v46, v90                                // 000000002228: 0AB4B52E
	v_mul_f32_e32 v91, v46, v91                                // 00000000222C: 0AB6B72E
	v_mul_f32_e32 v92, v46, v92                                // 000000002230: 0AB8B92E
	v_mul_f32_e32 v93, v46, v93                                // 000000002234: 0ABABB2E
	v_mul_f32_e32 v94, v46, v94                                // 000000002238: 0ABCBD2E
	v_mul_f32_e32 v95, v46, v95                                // 00000000223C: 0ABEBF2E
	buffer_load_dwordx4 a[48:51], v28, s[16:19], 0 offen       // 000000002240: E05C1000 8084301C
	v_mul_f32_dpp v88, v124, v88 quad_perm:[0,0,0,0] row_mask:0xf bank_mask:0xf// 000000002248: 0AB0B0FA FF00007C
	v_mul_f32_dpp v89, v124, v89 quad_perm:[1,1,1,1] row_mask:0xf bank_mask:0xf// 000000002250: 0AB2B2FA FF00557C
	v_mul_f32_dpp v90, v124, v90 quad_perm:[2,2,2,2] row_mask:0xf bank_mask:0xf// 000000002258: 0AB4B4FA FF00AA7C
	v_mul_f32_dpp v91, v124, v91 quad_perm:[3,3,3,3] row_mask:0xf bank_mask:0xf// 000000002260: 0AB6B6FA FF00FF7C
	v_mul_f32_dpp v92, v125, v92 quad_perm:[0,0,0,0] row_mask:0xf bank_mask:0xf// 000000002268: 0AB8B8FA FF00007D
	v_mul_f32_dpp v93, v125, v93 quad_perm:[1,1,1,1] row_mask:0xf bank_mask:0xf// 000000002270: 0ABABAFA FF00557D
	v_mul_f32_dpp v94, v125, v94 quad_perm:[2,2,2,2] row_mask:0xf bank_mask:0xf// 000000002278: 0ABCBCFA FF00AA7D
	v_mul_f32_dpp v95, v125, v95 quad_perm:[3,3,3,3] row_mask:0xf bank_mask:0xf// 000000002280: 0ABEBEFA FF00FF7D
	buffer_load_dwordx4 a[52:55], v28, s[16:19], 0 offen offset:1024// 000000002288: E05C1400 8084341C
	v_mov_b32_e32 v48, v88                                     // 000000002290: 7E600358
	v_max3_f32 v48, v88, v89, v48                              // 000000002294: D1D30030 04C2B358
	v_max3_f32 v48, v90, v91, v48                              // 00000000229C: D1D30030 04C2B75A
	v_max3_f32 v48, v92, v93, v48                              // 0000000022A4: D1D30030 04C2BB5C
	v_max3_f32 v48, v94, v95, v48                              // 0000000022AC: D1D30030 04C2BF5E
	ds_write_b32 v11, v48 offset:4224                          // 0000000022B4: D81A1080 0000300B
	buffer_load_dwordx4 a[56:59], v29, s[16:19], 0 offen       // 0000000022BC: E05C1000 8084381D
	v_mul_u32_u24_dpp v38, v17, v51 row_newbcast:1 row_mask:0xf bank_mask:0xf// 0000000022C4: 104C66FA FF015111
	v_mul_u32_u24_dpp v39, v17, v51 row_newbcast:5 row_mask:0xf bank_mask:0xf// 0000000022CC: 104E66FA FF015511
	v_mul_u32_u24_dpp v40, v17, v51 row_newbcast:9 row_mask:0xf bank_mask:0xf// 0000000022D4: 105066FA FF015911
	v_mul_u32_u24_dpp v41, v17, v51 row_newbcast:13 row_mask:0xf bank_mask:0xf// 0000000022DC: 105266FA FF015D11
	v_add_u32_e32 v34, v38, v7                                 // 0000000022E4: 68440F26
	v_add_u32_e32 v35, v39, v7                                 // 0000000022E8: 68460F27
	v_add_u32_e32 v36, v40, v7                                 // 0000000022EC: 68480F28
	v_add_u32_e32 v37, v41, v7                                 // 0000000022F0: 684A0F29
	s_waitcnt lgkmcnt(0)                                       // 0000000022F4: BF8CC07F
	s_barrier                                                  // 0000000022F8: BF8A0000
	ds_read_b32 v64, v10 offset:4224                           // 0000000022FC: D86C1080 4000000A
	ds_read_b32 v65, v10 offset:4288                           // 000000002304: D86C10C0 4100000A
	ds_read_b32 v66, v10 offset:4352                           // 00000000230C: D86C1100 4200000A
	ds_read_b32 v67, v10 offset:4416                           // 000000002314: D86C1140 4300000A
	ds_read_b32 v68, v10 offset:4480                           // 00000000231C: D86C1180 4400000A
	ds_read_b32 v69, v10 offset:4544                           // 000000002324: D86C11C0 4500000A
	ds_read_b32 v70, v10 offset:4608                           // 00000000232C: D86C1200 4600000A
	ds_read_b32 v71, v10 offset:4672                           // 000000002334: D86C1240 4700000A
	ds_read_b32 v72, v10 offset:4736                           // 00000000233C: D86C1280 4800000A
	ds_read_b32 v73, v10 offset:4800                           // 000000002344: D86C12C0 4900000A
	ds_read_b32 v74, v10 offset:4864                           // 00000000234C: D86C1300 4A00000A
	ds_read_b32 v75, v10 offset:4928                           // 000000002354: D86C1340 4B00000A
	ds_read_b32 v76, v10 offset:4992                           // 00000000235C: D86C1380 4C00000A
	ds_read_b32 v77, v10 offset:5056                           // 000000002364: D86C13C0 4D00000A
	ds_read_b32 v78, v10 offset:5120                           // 00000000236C: D86C1400 4E00000A
	ds_read_b32 v79, v10 offset:5184                           // 000000002374: D86C1440 4F00000A
	buffer_load_dwordx4 a[60:63], v29, s[16:19], 0 offen offset:1024// 00000000237C: E05C1400 80843C1D
	v_mul_f32_e32 v112, v49, v112                              // 000000002384: 0AE0E131
	v_mul_f32_e32 v113, v49, v113                              // 000000002388: 0AE2E331
	v_mul_f32_e32 v114, v49, v114                              // 00000000238C: 0AE4E531
	v_mul_f32_e32 v115, v49, v115                              // 000000002390: 0AE6E731
	v_or_b32_dpp v104, v108, v104 row_shr:8 row_mask:0xf bank_mask:0xf bound_ctrl:1// 000000002394: 28D0D0FA FF09186C
	v_or_b32_dpp v105, v109, v105 row_shr:8 row_mask:0xf bank_mask:0xf bound_ctrl:1// 00000000239C: 28D2D2FA FF09186D
	v_or_b32_dpp v106, v110, v106 row_shr:8 row_mask:0xf bank_mask:0xf bound_ctrl:1// 0000000023A4: 28D4D4FA FF09186E
	v_or_b32_dpp v107, v111, v107 row_shr:8 row_mask:0xf bank_mask:0xf bound_ctrl:1// 0000000023AC: 28D6D6FA FF09186F
	s_waitcnt lgkmcnt(0)                                       // 0000000023B4: BF8CC07F
	v_max3_f32 v48, v64, v65, v48                              // 0000000023B8: D1D30030 04C28340
	v_max3_f32 v48, v66, v67, v48                              // 0000000023C0: D1D30030 04C28742
	v_max3_f32 v48, v68, v69, v48                              // 0000000023C8: D1D30030 04C28B44
	v_max3_f32 v48, v70, v71, v48                              // 0000000023D0: D1D30030 04C28F46
	v_max3_f32 v48, v72, v73, v48                              // 0000000023D8: D1D30030 04C29348
	v_max3_f32 v48, v74, v75, v48                              // 0000000023E0: D1D30030 04C2974A
	v_max3_f32 v48, v76, v77, v48                              // 0000000023E8: D1D30030 04C29B4C
	v_max3_f32 v48, v78, v79, v48                              // 0000000023F0: D1D30030 04C29F4E
	buffer_load_dwordx4 a[96:99], v34, s[20:23], 0 offen       // 0000000023F8: E05C1000 80856022
	v_cmp_eq_u32_e64 s[40:41], v52, v14                        // 000000002400: D0CA0028 00021D34
	s_nop 1                                                    // 000000002408: BF800001
	v_mov_b32_dpp v38, v48 row_ror:8 row_mask:0xf bank_mask:0xf// 00000000240C: 7E4C02FA FF012830
	v_max_f32_e32 v48, v48, v38                                // 000000002414: 16604D30
	v_max_f32_e32 v15, v48, v14                                // 000000002418: 161E1D30
	v_mul_f32_e32 v50, s64, v15                                // 00000000241C: 0A641E40
	v_fma_f32 v88, v88, s64, -v50                              // 000000002420: D1CB0058 84C88158
	v_fma_f32 v89, v89, s64, -v50                              // 000000002428: D1CB0059 84C88159
	v_fma_f32 v90, v90, s64, -v50                              // 000000002430: D1CB005A 84C8815A
	v_fma_f32 v91, v91, s64, -v50                              // 000000002438: D1CB005B 84C8815B
	v_fma_f32 v92, v92, s64, -v50                              // 000000002440: D1CB005C 84C8815C
	v_fma_f32 v93, v93, s64, -v50                              // 000000002448: D1CB005D 84C8815D
	v_fma_f32 v94, v94, s64, -v50                              // 000000002450: D1CB005E 84C8815E
	v_fma_f32 v95, v95, s64, -v50                              // 000000002458: D1CB005F 84C8815F
	buffer_load_dwordx4 a[100:103], v35, s[20:23], 0 offen     // 000000002460: E05C1000 80856423
	v_exp_f32_e32 v88, v88                                     // 000000002468: 7EB04158
	v_exp_f32_e32 v89, v89                                     // 00000000246C: 7EB24159
	v_exp_f32_e32 v90, v90                                     // 000000002470: 7EB4415A
	v_exp_f32_e32 v91, v91                                     // 000000002474: 7EB6415B
	v_exp_f32_e32 v92, v92                                     // 000000002478: 7EB8415C
	v_exp_f32_e32 v93, v93                                     // 00000000247C: 7EBA415D
	v_exp_f32_e32 v94, v94                                     // 000000002480: 7EBC415E
	v_exp_f32_e32 v95, v95                                     // 000000002484: 7EBE415F
	buffer_load_dwordx4 a[104:107], v36, s[20:23], 0 offen     // 000000002488: E05C1000 80856824
	v_mul_f32_dpp v128, v126, v88 quad_perm:[0,0,0,0] row_mask:0xf bank_mask:0xf// 000000002490: 0B00B0FA FF00007E
	v_mul_f32_dpp v129, v126, v89 quad_perm:[1,1,1,1] row_mask:0xf bank_mask:0xf// 000000002498: 0B02B2FA FF00557E
	v_mul_f32_dpp v130, v126, v90 quad_perm:[2,2,2,2] row_mask:0xf bank_mask:0xf// 0000000024A0: 0B04B4FA FF00AA7E
	v_mul_f32_dpp v131, v126, v91 quad_perm:[3,3,3,3] row_mask:0xf bank_mask:0xf// 0000000024A8: 0B06B6FA FF00FF7E
	v_mul_f32_dpp v18, v127, v92 quad_perm:[0,0,0,0] row_mask:0xf bank_mask:0xf// 0000000024B0: 0A24B8FA FF00007F
	v_mul_f32_dpp v19, v127, v93 quad_perm:[1,1,1,1] row_mask:0xf bank_mask:0xf// 0000000024B8: 0A26BAFA FF00557F
	v_mul_f32_dpp v20, v127, v94 quad_perm:[2,2,2,2] row_mask:0xf bank_mask:0xf// 0000000024C0: 0A28BCFA FF00AA7F
	v_mul_f32_dpp v21, v127, v95 quad_perm:[3,3,3,3] row_mask:0xf bank_mask:0xf// 0000000024C8: 0A2ABEFA FF00FF7F
	v_mov_b32_e32 v48, 0x358637bd                              // 0000000024D0: 7E6002FF 358637BD
	v_max3_f32 v48, |v128|, |v129|, v48                        // 0000000024D8: D1D30330 04C30380
	v_max3_f32 v48, |v130|, |v131|, v48                        // 0000000024E0: D1D30330 04C30782
	v_max3_f32 v48, |v18|, |v19|, v48                          // 0000000024E8: D1D30330 04C22712
	v_max3_f32 v48, |v20|, |v21|, v48                          // 0000000024F0: D1D30330 04C22B14
	buffer_load_dwordx4 a[108:111], v37, s[20:23], 0 offen     // 0000000024F8: E05C1000 80856C25
	ds_write_b32 v11, v48 offset:5248                          // 000000002500: D81A1480 0000300B
	v_sub_f32_e32 v49, v14, v15                                // 000000002508: 04621F0E
	v_cndmask_b32_e64 v49, v49, 0, s[40:41]                    // 00000000250C: D1000031 00A10131
	v_mov_b32_e32 v14, v15                                     // 000000002514: 7E1C030F
	v_mul_f32_e32 v49, s64, v49                                // 000000002518: 0A626240
	v_exp_f32_e32 v49, v49                                     // 00000000251C: 7E624131
	s_waitcnt lgkmcnt(0)                                       // 000000002520: BF8CC07F
	s_barrier                                                  // 000000002524: BF8A0000
	ds_read_b32 v64, v10 offset:5248                           // 000000002528: D86C1480 4000000A
	ds_read_b32 v65, v10 offset:5312                           // 000000002530: D86C14C0 4100000A
	ds_read_b32 v66, v10 offset:5376                           // 000000002538: D86C1500 4200000A
	ds_read_b32 v67, v10 offset:5440                           // 000000002540: D86C1540 4300000A
	ds_read_b32 v68, v10 offset:5504                           // 000000002548: D86C1580 4400000A
	ds_read_b32 v69, v10 offset:5568                           // 000000002550: D86C15C0 4500000A
	ds_read_b32 v70, v10 offset:5632                           // 000000002558: D86C1600 4600000A
	ds_read_b32 v71, v10 offset:5696                           // 000000002560: D86C1640 4700000A
	ds_read_b32 v72, v10 offset:5760                           // 000000002568: D86C1680 4800000A
	ds_read_b32 v73, v10 offset:5824                           // 000000002570: D86C16C0 4900000A
	ds_read_b32 v74, v10 offset:5888                           // 000000002578: D86C1700 4A00000A
	ds_read_b32 v75, v10 offset:5952                           // 000000002580: D86C1740 4B00000A
	ds_read_b32 v76, v10 offset:6016                           // 000000002588: D86C1780 4C00000A
	ds_read_b32 v77, v10 offset:6080                           // 000000002590: D86C17C0 4D00000A
	ds_read_b32 v78, v10 offset:6144                           // 000000002598: D86C1800 4E00000A
	ds_read_b32 v79, v10 offset:6208                           // 0000000025A0: D86C1840 4F00000A
	v_mul_f32_e32 v42, v49, v42                                // 0000000025A8: 0A545531
	v_mov_b32_e32 v43, v88                                     // 0000000025AC: 7E560358
	v_add_f32_e32 v43, v89, v43                                // 0000000025B0: 02565759
	v_add_f32_e32 v43, v90, v43                                // 0000000025B4: 0256575A
	v_add_f32_e32 v43, v91, v43                                // 0000000025B8: 0256575B
	v_add_f32_e32 v43, v92, v43                                // 0000000025BC: 0256575C
	v_add_f32_e32 v43, v93, v43                                // 0000000025C0: 0256575D
	v_add_f32_e32 v43, v94, v43                                // 0000000025C4: 0256575E
	v_add_f32_e32 v43, v95, v43                                // 0000000025C8: 0256575F
	v_add_f32_e32 v42, v43, v42                                // 0000000025CC: 0254552B
	s_waitcnt lgkmcnt(0)                                       // 0000000025D0: BF8CC07F
	v_max3_f32 v48, |v64|, |v65|, v48                          // 0000000025D4: D1D30330 04C28340
	v_max3_f32 v48, |v66|, |v67|, v48                          // 0000000025DC: D1D30330 04C28742
	v_max3_f32 v48, |v68|, |v69|, v48                          // 0000000025E4: D1D30330 04C28B44
	v_max3_f32 v48, |v70|, |v71|, v48                          // 0000000025EC: D1D30330 04C28F46
	v_max3_f32 v48, |v72|, |v73|, v48                          // 0000000025F4: D1D30330 04C29348
	v_max3_f32 v48, |v74|, |v75|, v48                          // 0000000025FC: D1D30330 04C2974A
	v_max3_f32 v48, |v76|, |v77|, v48                          // 000000002604: D1D30330 04C29B4C
	v_max3_f32 v48, |v78|, |v79|, v48                          // 00000000260C: D1D30330 04C29F4E
	s_nop 2                                                    // 000000002614: BF800002
	v_mov_b32_dpp v38, v48 row_ror:8 row_mask:0xf bank_mask:0xf// 000000002618: 7E4C02FA FF012830
	v_max_f32_e32 v48, v48, v38                                // 000000002620: 16604D30
	v_rcp_f32_e32 v48, v48                                     // 000000002624: 7E604530
	s_nop 1                                                    // 000000002628: BF800001
	v_mul_f32_e32 v48, 0x42fe0000, v48                         // 00000000262C: 0A6060FF 42FE0000
	v_mul_f32_e32 v88, v48, v128                               // 000000002634: 0AB10130
	v_mul_f32_e32 v89, v48, v129                               // 000000002638: 0AB30330
	v_mul_f32_e32 v90, v48, v130                               // 00000000263C: 0AB50530
	v_mul_f32_e32 v91, v48, v131                               // 000000002640: 0AB70730
	v_mul_f32_e32 v92, v48, v18                                // 000000002644: 0AB82530
	v_mul_f32_e32 v93, v48, v19                                // 000000002648: 0ABA2730
	v_mul_f32_e32 v94, v48, v20                                // 00000000264C: 0ABC2930
	v_mul_f32_e32 v95, v48, v21                                // 000000002650: 0ABE2B30
	v_cvt_i32_f32_e32 v88, v88                                 // 000000002654: 7EB01158
	v_cvt_i32_f32_e32 v89, v89                                 // 000000002658: 7EB21159
	v_cvt_i32_f32_e32 v90, v90                                 // 00000000265C: 7EB4115A
	v_cvt_i32_f32_e32 v91, v91                                 // 000000002660: 7EB6115B
	v_cvt_i32_f32_e32 v92, v92                                 // 000000002664: 7EB8115C
	v_cvt_i32_f32_e32 v93, v93                                 // 000000002668: 7EBA115D
	v_cvt_i32_f32_e32 v94, v94                                 // 00000000266C: 7EBC115E
	v_cvt_i32_f32_e32 v95, v95                                 // 000000002670: 7EBE115F
	v_perm_b32 v88, v89, v88, s53                              // 000000002674: D1ED0058 00D6B159
	v_perm_b32 v88, v90, v88, s54                              // 00000000267C: D1ED0058 00DAB15A
	v_perm_b32 v88, v91, v88, s55                              // 000000002684: D1ED0058 00DEB15B
	v_perm_b32 v89, v93, v92, s53                              // 00000000268C: D1ED0059 00D6B95D
	v_perm_b32 v89, v94, v89, s54                              // 000000002694: D1ED0059 00DAB35E
	v_perm_b32 v89, v95, v89, s55                              // 00000000269C: D1ED0059 00DEB35F
	ds_write_b32 v13, v88 offset:6272                          // 0000000026A4: D81A1880 0000580D
	ds_write_b32 v13, v89 offset:7296                          // 0000000026AC: D81A1C80 0000590D
	v_cvt_f32_i32_e32 v104, v104                               // 0000000026B4: 7ED00B68
	v_cvt_f32_i32_e32 v105, v105                               // 0000000026B8: 7ED20B69
	v_cvt_f32_i32_e32 v106, v106                               // 0000000026BC: 7ED40B6A
	v_cvt_f32_i32_e32 v107, v107                               // 0000000026C0: 7ED60B6B
	v_mul_f32_e32 v104, v47, v104                              // 0000000026C4: 0AD0D12F
	v_mul_f32_e32 v105, v47, v105                              // 0000000026C8: 0AD2D32F
	v_mul_f32_e32 v106, v47, v106                              // 0000000026CC: 0AD4D52F
	v_mul_f32_e32 v107, v47, v107                              // 0000000026D0: 0AD6D72F
	v_rcp_f32_e32 v47, v48                                     // 0000000026D4: 7E5E4530
	s_waitcnt lgkmcnt(0)                                       // 0000000026D8: BF8CC07F
	s_barrier                                                  // 0000000026DC: BF8A0000
	ds_read_b64 v[88:89], v12 offset:6272                      // 0000000026E0: D8EC1880 5800000C
	ds_read_b64 v[90:91], v12 offset:6400                      // 0000000026E8: D8EC1900 5A00000C
	ds_read_b64 v[92:93], v12 offset:7296                      // 0000000026F0: D8EC1C80 5C00000C
	ds_read_b64 v[94:95], v12 offset:7424                      // 0000000026F8: D8EC1D00 5E00000C
	v_add_f32_e32 v112, v112, v104                             // 000000002700: 02E0D170
	v_add_f32_e32 v113, v113, v105                             // 000000002704: 02E2D371
	v_add_f32_e32 v114, v114, v106                             // 000000002708: 02E4D572
	v_add_f32_e32 v115, v115, v107                             // 00000000270C: 02E6D773
	s_waitcnt lgkmcnt(3)                                       // 000000002710: BF8CC37F
	v_mov_b32_dpp v96, v88 row_shl:8 row_mask:0xf bank_mask:0xf bound_ctrl:1// 000000002714: 7EC002FA FF090858
	v_and_b32_e32 v88, v88, v9                                 // 00000000271C: 26B01358
	v_mov_b32_dpp v97, v89 row_shl:8 row_mask:0xf bank_mask:0xf bound_ctrl:1// 000000002720: 7EC202FA FF090859
	v_and_b32_e32 v89, v89, v9                                 // 000000002728: 26B21359
	s_waitcnt lgkmcnt(2)                                       // 00000000272C: BF8CC27F
	v_mov_b32_dpp v98, v90 row_shl:8 row_mask:0xf bank_mask:0xf bound_ctrl:1// 000000002730: 7EC402FA FF09085A
	v_and_b32_e32 v90, v90, v9                                 // 000000002738: 26B4135A
	v_mov_b32_dpp v99, v91 row_shl:8 row_mask:0xf bank_mask:0xf bound_ctrl:1// 00000000273C: 7EC602FA FF09085B
	v_and_b32_e32 v91, v91, v9                                 // 000000002744: 26B6135B
	s_waitcnt lgkmcnt(1)                                       // 000000002748: BF8CC17F
	v_mov_b32_dpp v100, v92 row_shl:8 row_mask:0xf bank_mask:0xf bound_ctrl:1// 00000000274C: 7EC802FA FF09085C
	v_and_b32_e32 v92, v92, v9                                 // 000000002754: 26B8135C
	v_mov_b32_dpp v101, v93 row_shl:8 row_mask:0xf bank_mask:0xf bound_ctrl:1// 000000002758: 7ECA02FA FF09085D
	v_and_b32_e32 v93, v93, v9                                 // 000000002760: 26BA135D
	s_waitcnt lgkmcnt(0)                                       // 000000002764: BF8CC07F
	v_mov_b32_dpp v102, v94 row_shl:8 row_mask:0xf bank_mask:0xf bound_ctrl:1// 000000002768: 7ECC02FA FF09085E
	v_and_b32_e32 v94, v94, v9                                 // 000000002770: 26BC135E
	v_mov_b32_dpp v103, v95 row_shl:8 row_mask:0xf bank_mask:0xf bound_ctrl:1// 000000002774: 7ECE02FA FF09085F
	v_and_b32_e32 v95, v95, v9                                 // 00000000277C: 26BE135F
	s_waitcnt vmcnt(15)                                        // 000000002780: BF8C0F7F
	v_mfma_i32_16x16x32_i8 v[104:107], a[64:65], v[88:89], 0   // 000000002784: D3D70068 0A02B140
	v_mfma_i32_16x16x32_i8 v[104:107], a[66:67], v[90:91], v[104:107]// 00000000278C: D3D70068 0DA2B542
	buffer_load_dwordx4 a[112:115], v34, s[20:23], 0 offen offset:1024// 000000002794: E05C1400 80857022
	v_mfma_i32_16x16x32_i8 v[104:107], a[68:69], v[92:93], v[104:107]// 00000000279C: D3D70068 0DA2B944
	v_mfma_i32_16x16x32_i8 v[104:107], a[70:71], v[94:95], v[104:107]// 0000000027A4: D3D70068 0DA2BD46
	v_mfma_i32_16x16x32_i8 v[104:107], a[72:73], v[96:97], v[104:107]// 0000000027AC: D3D70068 0DA2C148
	v_mfma_i32_16x16x32_i8 v[104:107], a[74:75], v[98:99], v[104:107]// 0000000027B4: D3D70068 0DA2C54A
	buffer_load_dwordx4 a[116:119], v35, s[20:23], 0 offen offset:1024// 0000000027BC: E05C1400 80857423
	v_mfma_i32_16x16x32_i8 v[104:107], a[76:77], v[100:101], v[104:107]// 0000000027C4: D3D70068 0DA2C94C
	v_mfma_i32_16x16x32_i8 v[104:107], a[78:79], v[102:103], v[104:107]// 0000000027CC: D3D70068 0DA2CD4E
	v_mfma_i32_16x16x32_i8 v[108:111], a[80:81], v[88:89], 0   // 0000000027D4: D3D7006C 0A02B150
	v_mfma_i32_16x16x32_i8 v[108:111], a[82:83], v[90:91], v[108:111]// 0000000027DC: D3D7006C 0DB2B552
	buffer_load_dwordx4 a[120:123], v36, s[20:23], 0 offen offset:1024// 0000000027E4: E05C1400 80857824
	v_mfma_i32_16x16x32_i8 v[108:111], a[84:85], v[92:93], v[108:111]// 0000000027EC: D3D7006C 0DB2B954
	v_mfma_i32_16x16x32_i8 v[108:111], a[86:87], v[94:95], v[108:111]// 0000000027F4: D3D7006C 0DB2BD56
	v_mfma_i32_16x16x32_i8 v[108:111], a[88:89], v[96:97], v[108:111]// 0000000027FC: D3D7006C 0DB2C158
	v_mfma_i32_16x16x32_i8 v[108:111], a[90:91], v[98:99], v[108:111]// 000000002804: D3D7006C 0DB2C55A
	buffer_load_dwordx4 a[124:127], v37, s[20:23], 0 offen offset:1024// 00000000280C: E05C1400 80857C25
	v_mfma_i32_16x16x32_i8 v[108:111], a[92:93], v[100:101], v[108:111]// 000000002814: D3D7006C 0DB2C95C
	s_lshr_b32 s57, s70, 4                                     // 00000000281C: 8F398446
	s_add_u32 s57, 48, s57                                     // 000000002820: 803939B0
	v_mfma_i32_16x16x32_i8 v[108:111], a[94:95], v[102:103], v[108:111]// 000000002824: D3D7006C 0DB2CD5E
	s_cmp_ge_u32 s57, s52                                      // 00000000282C: BF093439
	s_cselect_b32 s56, 0, s56                                  // 000000002830: 85383880
	v_add_u32_e32 v1, s56, v1                                  // 000000002834: 68020238
	s_addk_i32 s70, 0x100                                      // 000000002838: B7460100
	s_cmp_lt_i32 s70, s71                                      // 00000000283C: BF044746
	s_cbranch_scc0 label_05CF                                  // 000000002840: BF8401F3
	s_waitcnt vmcnt(8) lgkmcnt(0)                              // 000000002844: BF8C0078
	v_mul_u32_u24_dpp v38, v16, v51 row_newbcast:0 row_mask:0xf bank_mask:0xf// 000000002848: 104C66FA FF015010
	v_mul_u32_u24_dpp v39, v16, v51 row_newbcast:4 row_mask:0xf bank_mask:0xf// 000000002850: 104E66FA FF015410
	v_mul_u32_u24_dpp v40, v16, v51 row_newbcast:8 row_mask:0xf bank_mask:0xf// 000000002858: 105066FA FF015810
	v_mul_u32_u24_dpp v41, v16, v51 row_newbcast:12 row_mask:0xf bank_mask:0xf// 000000002860: 105266FA FF015C10
	v_add_u32_e32 v22, v38, v6                                 // 000000002868: 682C0D26
	v_add_u32_e32 v23, v39, v6                                 // 00000000286C: 682E0D27
	v_add_u32_e32 v24, v40, v6                                 // 000000002870: 68300D28
	v_add_u32_e32 v25, v41, v6                                 // 000000002874: 68320D29
	v_mul_u32_u24_dpp v38, v16, v61 quad_perm:[0,0,0,0] row_mask:0xf bank_mask:0xf// 000000002878: 104C7AFA FF000010
	v_add_u32_e32 v2, v38, v57                                 // 000000002880: 68047326
	v_mul_u32_u24_dpp v38, v16, v61 quad_perm:[0,0,0,0] row_mask:0xf bank_mask:0xf// 000000002884: 104C7AFA FF000010
	v_add_u32_e32 v53, v38, v58                                // 00000000288C: 686A7526
	v_mfma_i32_16x16x32_i8 v[88:91], a[32:33], v[80:81], 0     // 000000002890: D3D70058 0A02A120
	v_mfma_i32_16x16x32_i8 v[88:91], a[34:35], v[82:83], v[88:91]// 000000002898: D3D70058 0D62A522
	buffer_load_dwordx4 a[0:3], v22, s[16:19], 0 offen         // 0000000028A0: E05C1000 80840016
	v_mfma_i32_16x16x32_i8 v[88:91], a[36:37], v[84:85], v[88:91]// 0000000028A8: D3D70058 0D62A924
	v_mfma_i32_16x16x32_i8 v[88:91], a[38:39], v[86:87], v[88:91]// 0000000028B0: D3D70058 0D62AD26
	buffer_load_dword v17, v1, s[24:27], 0 offen               // 0000000028B8: E0501000 80061101
	v_mfma_i32_16x16x32_i8 v[92:95], a[40:41], v[80:81], 0     // 0000000028C0: D3D7005C 0A02A128
	v_mfma_i32_16x16x32_i8 v[92:95], a[42:43], v[82:83], v[92:95]// 0000000028C8: D3D7005C 0D72A52A
	buffer_load_dwordx4 a[4:7], v22, s[16:19], 0 offen offset:1024// 0000000028D0: E05C1400 80840416
	v_mfma_i32_16x16x32_i8 v[92:95], a[44:45], v[84:85], v[92:95]// 0000000028D8: D3D7005C 0D72A92C
	v_mfma_i32_16x16x32_i8 v[92:95], a[46:47], v[86:87], v[92:95]// 0000000028E0: D3D7005C 0D72AD2E
	v_mfma_i32_16x16x32_i8 v[96:99], a[48:49], v[80:81], 0     // 0000000028E8: D3D70060 0A02A130
	v_mfma_i32_16x16x32_i8 v[96:99], a[50:51], v[82:83], v[96:99]// 0000000028F0: D3D70060 0D82A532
	buffer_load_dwordx4 a[8:11], v23, s[16:19], 0 offen        // 0000000028F8: E05C1000 80840817
	v_mfma_i32_16x16x32_i8 v[96:99], a[52:53], v[84:85], v[96:99]// 000000002900: D3D70060 0D82A934
	v_mfma_i32_16x16x32_i8 v[96:99], a[54:55], v[86:87], v[96:99]// 000000002908: D3D70060 0D82AD36
	v_mfma_i32_16x16x32_i8 v[100:103], a[56:57], v[80:81], 0   // 000000002910: D3D70064 0A02A138
	v_mfma_i32_16x16x32_i8 v[100:103], a[58:59], v[82:83], v[100:103]// 000000002918: D3D70064 0D92A53A
	buffer_load_dwordx4 a[12:15], v23, s[16:19], 0 offen offset:1024// 000000002920: E05C1400 80840C17
	v_mfma_i32_16x16x32_i8 v[100:103], a[60:61], v[84:85], v[100:103]// 000000002928: D3D70064 0D92A93C
	v_mfma_i32_16x16x32_i8 v[100:103], a[62:63], v[86:87], v[100:103]// 000000002930: D3D70064 0D92AD3E
	buffer_load_dword v44, v2, s[32:35], 0 offen               // 000000002938: E0501000 80082C02
	v_mov_b32_dpp v38, v45 row_shr:4 row_mask:0xf bank_mask:0xf// 000000002940: 7E4C02FA FF01142D
	v_mov_b32_dpp v39, v45 row_shl:4 row_mask:0xf bank_mask:0xf// 000000002948: 7E4E02FA FF01042D
	v_cndmask_b32_e64 v124, v45, v38, s[44:45]                 // 000000002950: D100007C 00B24D2D
	v_cndmask_b32_e64 v125, v39, v45, s[44:45]                 // 000000002958: D100007D 00B25B27
	v_mov_b32_dpp v38, v56 row_shr:4 row_mask:0xf bank_mask:0xf// 000000002960: 7E4C02FA FF011438
	v_mov_b32_dpp v39, v56 row_shl:4 row_mask:0xf bank_mask:0xf// 000000002968: 7E4E02FA FF010438
	v_cndmask_b32_e64 v126, v56, v38, s[44:45]                 // 000000002970: D100007E 00B24D38
	v_cndmask_b32_e64 v127, v39, v56, s[44:45]                 // 000000002978: D100007F 00B27127
	v_or_b32_dpp v88, v96, v88 row_shr:8 row_mask:0xf bank_mask:0xf bound_ctrl:1// 000000002980: 28B0B0FA FF091860
	v_or_b32_dpp v89, v97, v89 row_shr:8 row_mask:0xf bank_mask:0xf bound_ctrl:1// 000000002988: 28B2B2FA FF091861
	v_or_b32_dpp v90, v98, v90 row_shr:8 row_mask:0xf bank_mask:0xf bound_ctrl:1// 000000002990: 28B4B4FA FF091862
	v_or_b32_dpp v91, v99, v91 row_shr:8 row_mask:0xf bank_mask:0xf bound_ctrl:1// 000000002998: 28B6B6FA FF091863
	v_or_b32_dpp v92, v100, v92 row_shr:8 row_mask:0xf bank_mask:0xf bound_ctrl:1// 0000000029A0: 28B8B8FA FF091864
	v_or_b32_dpp v93, v101, v93 row_shr:8 row_mask:0xf bank_mask:0xf bound_ctrl:1// 0000000029A8: 28BABAFA FF091865
	v_or_b32_dpp v94, v102, v94 row_shr:8 row_mask:0xf bank_mask:0xf bound_ctrl:1// 0000000029B0: 28BCBCFA FF091866
	v_or_b32_dpp v95, v103, v95 row_shr:8 row_mask:0xf bank_mask:0xf bound_ctrl:1// 0000000029B8: 28BEBEFA FF091867
	buffer_load_dword v55, v53, s[36:39], 0 offen              // 0000000029C0: E0501000 80093735
	v_cvt_f32_i32_e32 v88, v88                                 // 0000000029C8: 7EB00B58
	v_cvt_f32_i32_e32 v89, v89                                 // 0000000029CC: 7EB20B59
	v_cvt_f32_i32_e32 v90, v90                                 // 0000000029D0: 7EB40B5A
	v_cvt_f32_i32_e32 v91, v91                                 // 0000000029D4: 7EB60B5B
	v_cvt_f32_i32_e32 v92, v92                                 // 0000000029D8: 7EB80B5C
	v_cvt_f32_i32_e32 v93, v93                                 // 0000000029DC: 7EBA0B5D
	v_cvt_f32_i32_e32 v94, v94                                 // 0000000029E0: 7EBC0B5E
	v_cvt_f32_i32_e32 v95, v95                                 // 0000000029E4: 7EBE0B5F
	v_mul_f32_e32 v88, v46, v88                                // 0000000029E8: 0AB0B12E
	v_mul_f32_e32 v89, v46, v89                                // 0000000029EC: 0AB2B32E
	v_mul_f32_e32 v90, v46, v90                                // 0000000029F0: 0AB4B52E
	v_mul_f32_e32 v91, v46, v91                                // 0000000029F4: 0AB6B72E
	v_mul_f32_e32 v92, v46, v92                                // 0000000029F8: 0AB8B92E
	v_mul_f32_e32 v93, v46, v93                                // 0000000029FC: 0ABABB2E
	v_mul_f32_e32 v94, v46, v94                                // 000000002A00: 0ABCBD2E
	v_mul_f32_e32 v95, v46, v95                                // 000000002A04: 0ABEBF2E
	buffer_load_dwordx4 a[16:19], v24, s[16:19], 0 offen       // 000000002A08: E05C1000 80841018
	v_mul_f32_dpp v88, v124, v88 quad_perm:[0,0,0,0] row_mask:0xf bank_mask:0xf// 000000002A10: 0AB0B0FA FF00007C
	v_mul_f32_dpp v89, v124, v89 quad_perm:[1,1,1,1] row_mask:0xf bank_mask:0xf// 000000002A18: 0AB2B2FA FF00557C
	v_mul_f32_dpp v90, v124, v90 quad_perm:[2,2,2,2] row_mask:0xf bank_mask:0xf// 000000002A20: 0AB4B4FA FF00AA7C
	v_mul_f32_dpp v91, v124, v91 quad_perm:[3,3,3,3] row_mask:0xf bank_mask:0xf// 000000002A28: 0AB6B6FA FF00FF7C
	v_mul_f32_dpp v92, v125, v92 quad_perm:[0,0,0,0] row_mask:0xf bank_mask:0xf// 000000002A30: 0AB8B8FA FF00007D
	v_mul_f32_dpp v93, v125, v93 quad_perm:[1,1,1,1] row_mask:0xf bank_mask:0xf// 000000002A38: 0ABABAFA FF00557D
	v_mul_f32_dpp v94, v125, v94 quad_perm:[2,2,2,2] row_mask:0xf bank_mask:0xf// 000000002A40: 0ABCBCFA FF00AA7D
	v_mul_f32_dpp v95, v125, v95 quad_perm:[3,3,3,3] row_mask:0xf bank_mask:0xf// 000000002A48: 0ABEBEFA FF00FF7D
	buffer_load_dwordx4 a[20:23], v24, s[16:19], 0 offen offset:1024// 000000002A50: E05C1400 80841418
	v_mov_b32_e32 v48, v88                                     // 000000002A58: 7E600358
	v_max3_f32 v48, v88, v89, v48                              // 000000002A5C: D1D30030 04C2B358
	v_max3_f32 v48, v90, v91, v48                              // 000000002A64: D1D30030 04C2B75A
	v_max3_f32 v48, v92, v93, v48                              // 000000002A6C: D1D30030 04C2BB5C
	v_max3_f32 v48, v94, v95, v48                              // 000000002A74: D1D30030 04C2BF5E
	ds_write_b32 v11, v48 offset:4224                          // 000000002A7C: D81A1080 0000300B
	buffer_load_dwordx4 a[24:27], v25, s[16:19], 0 offen       // 000000002A84: E05C1000 80841819
	v_mul_u32_u24_dpp v38, v16, v51 row_newbcast:1 row_mask:0xf bank_mask:0xf// 000000002A8C: 104C66FA FF015110
	v_mul_u32_u24_dpp v39, v16, v51 row_newbcast:5 row_mask:0xf bank_mask:0xf// 000000002A94: 104E66FA FF015510
	v_mul_u32_u24_dpp v40, v16, v51 row_newbcast:9 row_mask:0xf bank_mask:0xf// 000000002A9C: 105066FA FF015910
	v_mul_u32_u24_dpp v41, v16, v51 row_newbcast:13 row_mask:0xf bank_mask:0xf// 000000002AA4: 105266FA FF015D10
	v_add_u32_e32 v30, v38, v7                                 // 000000002AAC: 683C0F26
	v_add_u32_e32 v31, v39, v7                                 // 000000002AB0: 683E0F27
	v_add_u32_e32 v32, v40, v7                                 // 000000002AB4: 68400F28
	v_add_u32_e32 v33, v41, v7                                 // 000000002AB8: 68420F29
	s_waitcnt lgkmcnt(0)                                       // 000000002ABC: BF8CC07F
	s_barrier                                                  // 000000002AC0: BF8A0000
	ds_read_b32 v64, v10 offset:4224                           // 000000002AC4: D86C1080 4000000A
	ds_read_b32 v65, v10 offset:4288                           // 000000002ACC: D86C10C0 4100000A
	ds_read_b32 v66, v10 offset:4352                           // 000000002AD4: D86C1100 4200000A
	ds_read_b32 v67, v10 offset:4416                           // 000000002ADC: D86C1140 4300000A
	ds_read_b32 v68, v10 offset:4480                           // 000000002AE4: D86C1180 4400000A
	ds_read_b32 v69, v10 offset:4544                           // 000000002AEC: D86C11C0 4500000A
	ds_read_b32 v70, v10 offset:4608                           // 000000002AF4: D86C1200 4600000A
	ds_read_b32 v71, v10 offset:4672                           // 000000002AFC: D86C1240 4700000A
	ds_read_b32 v72, v10 offset:4736                           // 000000002B04: D86C1280 4800000A
	ds_read_b32 v73, v10 offset:4800                           // 000000002B0C: D86C12C0 4900000A
	ds_read_b32 v74, v10 offset:4864                           // 000000002B14: D86C1300 4A00000A
	ds_read_b32 v75, v10 offset:4928                           // 000000002B1C: D86C1340 4B00000A
	ds_read_b32 v76, v10 offset:4992                           // 000000002B24: D86C1380 4C00000A
	ds_read_b32 v77, v10 offset:5056                           // 000000002B2C: D86C13C0 4D00000A
	ds_read_b32 v78, v10 offset:5120                           // 000000002B34: D86C1400 4E00000A
	ds_read_b32 v79, v10 offset:5184                           // 000000002B3C: D86C1440 4F00000A
	buffer_load_dwordx4 a[28:31], v25, s[16:19], 0 offen offset:1024// 000000002B44: E05C1400 80841C19
	v_mul_f32_e32 v112, v49, v112                              // 000000002B4C: 0AE0E131
	v_mul_f32_e32 v113, v49, v113                              // 000000002B50: 0AE2E331
	v_mul_f32_e32 v114, v49, v114                              // 000000002B54: 0AE4E531
	v_mul_f32_e32 v115, v49, v115                              // 000000002B58: 0AE6E731
	v_or_b32_dpp v104, v108, v104 row_shr:8 row_mask:0xf bank_mask:0xf bound_ctrl:1// 000000002B5C: 28D0D0FA FF09186C
	v_or_b32_dpp v105, v109, v105 row_shr:8 row_mask:0xf bank_mask:0xf bound_ctrl:1// 000000002B64: 28D2D2FA FF09186D
	v_or_b32_dpp v106, v110, v106 row_shr:8 row_mask:0xf bank_mask:0xf bound_ctrl:1// 000000002B6C: 28D4D4FA FF09186E
	v_or_b32_dpp v107, v111, v107 row_shr:8 row_mask:0xf bank_mask:0xf bound_ctrl:1// 000000002B74: 28D6D6FA FF09186F
	s_waitcnt lgkmcnt(0)                                       // 000000002B7C: BF8CC07F
	v_max3_f32 v48, v64, v65, v48                              // 000000002B80: D1D30030 04C28340
	v_max3_f32 v48, v66, v67, v48                              // 000000002B88: D1D30030 04C28742
	v_max3_f32 v48, v68, v69, v48                              // 000000002B90: D1D30030 04C28B44
	v_max3_f32 v48, v70, v71, v48                              // 000000002B98: D1D30030 04C28F46
	v_max3_f32 v48, v72, v73, v48                              // 000000002BA0: D1D30030 04C29348
	v_max3_f32 v48, v74, v75, v48                              // 000000002BA8: D1D30030 04C2974A
	v_max3_f32 v48, v76, v77, v48                              // 000000002BB0: D1D30030 04C29B4C
	v_max3_f32 v48, v78, v79, v48                              // 000000002BB8: D1D30030 04C29F4E
	buffer_load_dwordx4 a[64:67], v30, s[20:23], 0 offen       // 000000002BC0: E05C1000 8085401E
	v_cmp_eq_u32_e64 s[40:41], v52, v14                        // 000000002BC8: D0CA0028 00021D34
	s_nop 1                                                    // 000000002BD0: BF800001
	v_mov_b32_dpp v38, v48 row_ror:8 row_mask:0xf bank_mask:0xf// 000000002BD4: 7E4C02FA FF012830
	v_max_f32_e32 v48, v48, v38                                // 000000002BDC: 16604D30
	v_max_f32_e32 v15, v48, v14                                // 000000002BE0: 161E1D30
	v_mul_f32_e32 v50, s64, v15                                // 000000002BE4: 0A641E40
	v_fma_f32 v88, v88, s64, -v50                              // 000000002BE8: D1CB0058 84C88158
	v_fma_f32 v89, v89, s64, -v50                              // 000000002BF0: D1CB0059 84C88159
	v_fma_f32 v90, v90, s64, -v50                              // 000000002BF8: D1CB005A 84C8815A
	v_fma_f32 v91, v91, s64, -v50                              // 000000002C00: D1CB005B 84C8815B
	v_fma_f32 v92, v92, s64, -v50                              // 000000002C08: D1CB005C 84C8815C
	v_fma_f32 v93, v93, s64, -v50                              // 000000002C10: D1CB005D 84C8815D
	v_fma_f32 v94, v94, s64, -v50                              // 000000002C18: D1CB005E 84C8815E
	v_fma_f32 v95, v95, s64, -v50                              // 000000002C20: D1CB005F 84C8815F
	buffer_load_dwordx4 a[68:71], v31, s[20:23], 0 offen       // 000000002C28: E05C1000 8085441F
	v_exp_f32_e32 v88, v88                                     // 000000002C30: 7EB04158
	v_exp_f32_e32 v89, v89                                     // 000000002C34: 7EB24159
	v_exp_f32_e32 v90, v90                                     // 000000002C38: 7EB4415A
	v_exp_f32_e32 v91, v91                                     // 000000002C3C: 7EB6415B
	v_exp_f32_e32 v92, v92                                     // 000000002C40: 7EB8415C
	v_exp_f32_e32 v93, v93                                     // 000000002C44: 7EBA415D
	v_exp_f32_e32 v94, v94                                     // 000000002C48: 7EBC415E
	v_exp_f32_e32 v95, v95                                     // 000000002C4C: 7EBE415F
	buffer_load_dwordx4 a[72:75], v32, s[20:23], 0 offen       // 000000002C50: E05C1000 80854820
	v_mul_f32_dpp v128, v126, v88 quad_perm:[0,0,0,0] row_mask:0xf bank_mask:0xf// 000000002C58: 0B00B0FA FF00007E
	v_mul_f32_dpp v129, v126, v89 quad_perm:[1,1,1,1] row_mask:0xf bank_mask:0xf// 000000002C60: 0B02B2FA FF00557E
	v_mul_f32_dpp v130, v126, v90 quad_perm:[2,2,2,2] row_mask:0xf bank_mask:0xf// 000000002C68: 0B04B4FA FF00AA7E
	v_mul_f32_dpp v131, v126, v91 quad_perm:[3,3,3,3] row_mask:0xf bank_mask:0xf// 000000002C70: 0B06B6FA FF00FF7E
	v_mul_f32_dpp v18, v127, v92 quad_perm:[0,0,0,0] row_mask:0xf bank_mask:0xf// 000000002C78: 0A24B8FA FF00007F
	v_mul_f32_dpp v19, v127, v93 quad_perm:[1,1,1,1] row_mask:0xf bank_mask:0xf// 000000002C80: 0A26BAFA FF00557F
	v_mul_f32_dpp v20, v127, v94 quad_perm:[2,2,2,2] row_mask:0xf bank_mask:0xf// 000000002C88: 0A28BCFA FF00AA7F
	v_mul_f32_dpp v21, v127, v95 quad_perm:[3,3,3,3] row_mask:0xf bank_mask:0xf// 000000002C90: 0A2ABEFA FF00FF7F
	v_mov_b32_e32 v48, 0x358637bd                              // 000000002C98: 7E6002FF 358637BD
	v_max3_f32 v48, |v128|, |v129|, v48                        // 000000002CA0: D1D30330 04C30380
	v_max3_f32 v48, |v130|, |v131|, v48                        // 000000002CA8: D1D30330 04C30782
	v_max3_f32 v48, |v18|, |v19|, v48                          // 000000002CB0: D1D30330 04C22712
	v_max3_f32 v48, |v20|, |v21|, v48                          // 000000002CB8: D1D30330 04C22B14
	buffer_load_dwordx4 a[76:79], v33, s[20:23], 0 offen       // 000000002CC0: E05C1000 80854C21
	ds_write_b32 v11, v48 offset:5248                          // 000000002CC8: D81A1480 0000300B
	v_sub_f32_e32 v49, v14, v15                                // 000000002CD0: 04621F0E
	v_cndmask_b32_e64 v49, v49, 0, s[40:41]                    // 000000002CD4: D1000031 00A10131
	v_mov_b32_e32 v14, v15                                     // 000000002CDC: 7E1C030F
	v_mul_f32_e32 v49, s64, v49                                // 000000002CE0: 0A626240
	v_exp_f32_e32 v49, v49                                     // 000000002CE4: 7E624131
	s_waitcnt lgkmcnt(0)                                       // 000000002CE8: BF8CC07F
	s_barrier                                                  // 000000002CEC: BF8A0000
	ds_read_b32 v64, v10 offset:5248                           // 000000002CF0: D86C1480 4000000A
	ds_read_b32 v65, v10 offset:5312                           // 000000002CF8: D86C14C0 4100000A
	ds_read_b32 v66, v10 offset:5376                           // 000000002D00: D86C1500 4200000A
	ds_read_b32 v67, v10 offset:5440                           // 000000002D08: D86C1540 4300000A
	ds_read_b32 v68, v10 offset:5504                           // 000000002D10: D86C1580 4400000A
	ds_read_b32 v69, v10 offset:5568                           // 000000002D18: D86C15C0 4500000A
	ds_read_b32 v70, v10 offset:5632                           // 000000002D20: D86C1600 4600000A
	ds_read_b32 v71, v10 offset:5696                           // 000000002D28: D86C1640 4700000A
	ds_read_b32 v72, v10 offset:5760                           // 000000002D30: D86C1680 4800000A
	ds_read_b32 v73, v10 offset:5824                           // 000000002D38: D86C16C0 4900000A
	ds_read_b32 v74, v10 offset:5888                           // 000000002D40: D86C1700 4A00000A
	ds_read_b32 v75, v10 offset:5952                           // 000000002D48: D86C1740 4B00000A
	ds_read_b32 v76, v10 offset:6016                           // 000000002D50: D86C1780 4C00000A
	ds_read_b32 v77, v10 offset:6080                           // 000000002D58: D86C17C0 4D00000A
	ds_read_b32 v78, v10 offset:6144                           // 000000002D60: D86C1800 4E00000A
	ds_read_b32 v79, v10 offset:6208                           // 000000002D68: D86C1840 4F00000A
	v_mul_f32_e32 v42, v49, v42                                // 000000002D70: 0A545531
	v_mov_b32_e32 v43, v88                                     // 000000002D74: 7E560358
	v_add_f32_e32 v43, v89, v43                                // 000000002D78: 02565759
	v_add_f32_e32 v43, v90, v43                                // 000000002D7C: 0256575A
	v_add_f32_e32 v43, v91, v43                                // 000000002D80: 0256575B
	v_add_f32_e32 v43, v92, v43                                // 000000002D84: 0256575C
	v_add_f32_e32 v43, v93, v43                                // 000000002D88: 0256575D
	v_add_f32_e32 v43, v94, v43                                // 000000002D8C: 0256575E
	v_add_f32_e32 v43, v95, v43                                // 000000002D90: 0256575F
	v_add_f32_e32 v42, v43, v42                                // 000000002D94: 0254552B
	s_waitcnt lgkmcnt(0)                                       // 000000002D98: BF8CC07F
	v_max3_f32 v48, |v64|, |v65|, v48                          // 000000002D9C: D1D30330 04C28340
	v_max3_f32 v48, |v66|, |v67|, v48                          // 000000002DA4: D1D30330 04C28742
	v_max3_f32 v48, |v68|, |v69|, v48                          // 000000002DAC: D1D30330 04C28B44
	v_max3_f32 v48, |v70|, |v71|, v48                          // 000000002DB4: D1D30330 04C28F46
	v_max3_f32 v48, |v72|, |v73|, v48                          // 000000002DBC: D1D30330 04C29348
	v_max3_f32 v48, |v74|, |v75|, v48                          // 000000002DC4: D1D30330 04C2974A
	v_max3_f32 v48, |v76|, |v77|, v48                          // 000000002DCC: D1D30330 04C29B4C
	v_max3_f32 v48, |v78|, |v79|, v48                          // 000000002DD4: D1D30330 04C29F4E
	s_nop 2                                                    // 000000002DDC: BF800002
	v_mov_b32_dpp v38, v48 row_ror:8 row_mask:0xf bank_mask:0xf// 000000002DE0: 7E4C02FA FF012830
	v_max_f32_e32 v48, v48, v38                                // 000000002DE8: 16604D30
	v_rcp_f32_e32 v48, v48                                     // 000000002DEC: 7E604530
	s_nop 1                                                    // 000000002DF0: BF800001
	v_mul_f32_e32 v48, 0x42fe0000, v48                         // 000000002DF4: 0A6060FF 42FE0000
	v_mul_f32_e32 v88, v48, v128                               // 000000002DFC: 0AB10130
	v_mul_f32_e32 v89, v48, v129                               // 000000002E00: 0AB30330
	v_mul_f32_e32 v90, v48, v130                               // 000000002E04: 0AB50530
	v_mul_f32_e32 v91, v48, v131                               // 000000002E08: 0AB70730
	v_mul_f32_e32 v92, v48, v18                                // 000000002E0C: 0AB82530
	v_mul_f32_e32 v93, v48, v19                                // 000000002E10: 0ABA2730
	v_mul_f32_e32 v94, v48, v20                                // 000000002E14: 0ABC2930
	v_mul_f32_e32 v95, v48, v21                                // 000000002E18: 0ABE2B30
	v_cvt_i32_f32_e32 v88, v88                                 // 000000002E1C: 7EB01158
	v_cvt_i32_f32_e32 v89, v89                                 // 000000002E20: 7EB21159
	v_cvt_i32_f32_e32 v90, v90                                 // 000000002E24: 7EB4115A
	v_cvt_i32_f32_e32 v91, v91                                 // 000000002E28: 7EB6115B
	v_cvt_i32_f32_e32 v92, v92                                 // 000000002E2C: 7EB8115C
	v_cvt_i32_f32_e32 v93, v93                                 // 000000002E30: 7EBA115D
	v_cvt_i32_f32_e32 v94, v94                                 // 000000002E34: 7EBC115E
	v_cvt_i32_f32_e32 v95, v95                                 // 000000002E38: 7EBE115F
	v_perm_b32 v88, v89, v88, s53                              // 000000002E3C: D1ED0058 00D6B159
	v_perm_b32 v88, v90, v88, s54                              // 000000002E44: D1ED0058 00DAB15A
	v_perm_b32 v88, v91, v88, s55                              // 000000002E4C: D1ED0058 00DEB15B
	v_perm_b32 v89, v93, v92, s53                              // 000000002E54: D1ED0059 00D6B95D
	v_perm_b32 v89, v94, v89, s54                              // 000000002E5C: D1ED0059 00DAB35E
	v_perm_b32 v89, v95, v89, s55                              // 000000002E64: D1ED0059 00DEB35F
	ds_write_b32 v13, v88 offset:6272                          // 000000002E6C: D81A1880 0000580D
	ds_write_b32 v13, v89 offset:7296                          // 000000002E74: D81A1C80 0000590D
	v_cvt_f32_i32_e32 v104, v104                               // 000000002E7C: 7ED00B68
	v_cvt_f32_i32_e32 v105, v105                               // 000000002E80: 7ED20B69
	v_cvt_f32_i32_e32 v106, v106                               // 000000002E84: 7ED40B6A
	v_cvt_f32_i32_e32 v107, v107                               // 000000002E88: 7ED60B6B
	v_mul_f32_e32 v104, v47, v104                              // 000000002E8C: 0AD0D12F
	v_mul_f32_e32 v105, v47, v105                              // 000000002E90: 0AD2D32F
	v_mul_f32_e32 v106, v47, v106                              // 000000002E94: 0AD4D52F
	v_mul_f32_e32 v107, v47, v107                              // 000000002E98: 0AD6D72F
	v_rcp_f32_e32 v47, v48                                     // 000000002E9C: 7E5E4530
	s_waitcnt lgkmcnt(0)                                       // 000000002EA0: BF8CC07F
	s_barrier                                                  // 000000002EA4: BF8A0000
	ds_read_b64 v[88:89], v12 offset:6272                      // 000000002EA8: D8EC1880 5800000C
	ds_read_b64 v[90:91], v12 offset:6400                      // 000000002EB0: D8EC1900 5A00000C
	ds_read_b64 v[92:93], v12 offset:7296                      // 000000002EB8: D8EC1C80 5C00000C
	ds_read_b64 v[94:95], v12 offset:7424                      // 000000002EC0: D8EC1D00 5E00000C
	v_add_f32_e32 v112, v112, v104                             // 000000002EC8: 02E0D170
	v_add_f32_e32 v113, v113, v105                             // 000000002ECC: 02E2D371
	v_add_f32_e32 v114, v114, v106                             // 000000002ED0: 02E4D572
	v_add_f32_e32 v115, v115, v107                             // 000000002ED4: 02E6D773
	s_waitcnt lgkmcnt(3)                                       // 000000002ED8: BF8CC37F
	v_mov_b32_dpp v96, v88 row_shl:8 row_mask:0xf bank_mask:0xf bound_ctrl:1// 000000002EDC: 7EC002FA FF090858
	v_and_b32_e32 v88, v88, v9                                 // 000000002EE4: 26B01358
	v_mov_b32_dpp v97, v89 row_shl:8 row_mask:0xf bank_mask:0xf bound_ctrl:1// 000000002EE8: 7EC202FA FF090859
	v_and_b32_e32 v89, v89, v9                                 // 000000002EF0: 26B21359
	s_waitcnt lgkmcnt(2)                                       // 000000002EF4: BF8CC27F
	v_mov_b32_dpp v98, v90 row_shl:8 row_mask:0xf bank_mask:0xf bound_ctrl:1// 000000002EF8: 7EC402FA FF09085A
	v_and_b32_e32 v90, v90, v9                                 // 000000002F00: 26B4135A
	v_mov_b32_dpp v99, v91 row_shl:8 row_mask:0xf bank_mask:0xf bound_ctrl:1// 000000002F04: 7EC602FA FF09085B
	v_and_b32_e32 v91, v91, v9                                 // 000000002F0C: 26B6135B
	s_waitcnt lgkmcnt(1)                                       // 000000002F10: BF8CC17F
	v_mov_b32_dpp v100, v92 row_shl:8 row_mask:0xf bank_mask:0xf bound_ctrl:1// 000000002F14: 7EC802FA FF09085C
	v_and_b32_e32 v92, v92, v9                                 // 000000002F1C: 26B8135C
	v_mov_b32_dpp v101, v93 row_shl:8 row_mask:0xf bank_mask:0xf bound_ctrl:1// 000000002F20: 7ECA02FA FF09085D
	v_and_b32_e32 v93, v93, v9                                 // 000000002F28: 26BA135D
	s_waitcnt lgkmcnt(0)                                       // 000000002F2C: BF8CC07F
	v_mov_b32_dpp v102, v94 row_shl:8 row_mask:0xf bank_mask:0xf bound_ctrl:1// 000000002F30: 7ECC02FA FF09085E
	v_and_b32_e32 v94, v94, v9                                 // 000000002F38: 26BC135E
	v_mov_b32_dpp v103, v95 row_shl:8 row_mask:0xf bank_mask:0xf bound_ctrl:1// 000000002F3C: 7ECE02FA FF09085F
	v_and_b32_e32 v95, v95, v9                                 // 000000002F44: 26BE135F
	s_waitcnt vmcnt(15)                                        // 000000002F48: BF8C0F7F
	v_mfma_i32_16x16x32_i8 v[104:107], a[96:97], v[88:89], 0   // 000000002F4C: D3D70068 0A02B160
	v_mfma_i32_16x16x32_i8 v[104:107], a[98:99], v[90:91], v[104:107]// 000000002F54: D3D70068 0DA2B562
	buffer_load_dwordx4 a[80:83], v30, s[20:23], 0 offen offset:1024// 000000002F5C: E05C1400 8085501E
	v_mfma_i32_16x16x32_i8 v[104:107], a[100:101], v[92:93], v[104:107]// 000000002F64: D3D70068 0DA2B964
	v_mfma_i32_16x16x32_i8 v[104:107], a[102:103], v[94:95], v[104:107]// 000000002F6C: D3D70068 0DA2BD66
	v_mfma_i32_16x16x32_i8 v[104:107], a[104:105], v[96:97], v[104:107]// 000000002F74: D3D70068 0DA2C168
	v_mfma_i32_16x16x32_i8 v[104:107], a[106:107], v[98:99], v[104:107]// 000000002F7C: D3D70068 0DA2C56A
	buffer_load_dwordx4 a[84:87], v31, s[20:23], 0 offen offset:1024// 000000002F84: E05C1400 8085541F
	v_mfma_i32_16x16x32_i8 v[104:107], a[108:109], v[100:101], v[104:107]// 000000002F8C: D3D70068 0DA2C96C
	v_mfma_i32_16x16x32_i8 v[104:107], a[110:111], v[102:103], v[104:107]// 000000002F94: D3D70068 0DA2CD6E
	v_mfma_i32_16x16x32_i8 v[108:111], a[112:113], v[88:89], 0 // 000000002F9C: D3D7006C 0A02B170
	v_mfma_i32_16x16x32_i8 v[108:111], a[114:115], v[90:91], v[108:111]// 000000002FA4: D3D7006C 0DB2B572
	buffer_load_dwordx4 a[88:91], v32, s[20:23], 0 offen offset:1024// 000000002FAC: E05C1400 80855820
	v_mfma_i32_16x16x32_i8 v[108:111], a[116:117], v[92:93], v[108:111]// 000000002FB4: D3D7006C 0DB2B974
	v_mfma_i32_16x16x32_i8 v[108:111], a[118:119], v[94:95], v[108:111]// 000000002FBC: D3D7006C 0DB2BD76
	v_mfma_i32_16x16x32_i8 v[108:111], a[120:121], v[96:97], v[108:111]// 000000002FC4: D3D7006C 0DB2C178
	v_mfma_i32_16x16x32_i8 v[108:111], a[122:123], v[98:99], v[108:111]// 000000002FCC: D3D7006C 0DB2C57A
	buffer_load_dwordx4 a[92:95], v33, s[20:23], 0 offen offset:1024// 000000002FD4: E05C1400 80855C21
	v_mfma_i32_16x16x32_i8 v[108:111], a[124:125], v[100:101], v[108:111]// 000000002FDC: D3D7006C 0DB2C97C
	s_lshr_b32 s57, s70, 4                                     // 000000002FE4: 8F398446
	s_add_u32 s57, 48, s57                                     // 000000002FE8: 803939B0
	v_mfma_i32_16x16x32_i8 v[108:111], a[126:127], v[102:103], v[108:111]// 000000002FEC: D3D7006C 0DB2CD7E
	s_cmp_ge_u32 s57, s52                                      // 000000002FF4: BF093439
	s_cselect_b32 s56, 0, s56                                  // 000000002FF8: 85383880
	v_add_u32_e32 v1, s56, v1                                  // 000000002FFC: 68020238
	s_addk_i32 s70, 0x100                                      // 000000003000: B7460100
	s_cmp_lt_i32 s70, s71                                      // 000000003004: BF044746
	s_cbranch_scc0 label_05CF                                  // 000000003008: BF840001
	s_branch label_01EA                                        // 00000000300C: BF82FC1B

0000000000003010 <label_05CF>:
	s_nop 0                                                    // 000000003010: BF800000
	s_nop 0                                                    // 000000003014: BF800000
	s_branch label_09B7                                        // 000000003018: BF8203E5

000000000000301c <label_05D2>:
	s_waitcnt vmcnt(8) lgkmcnt(0)                              // 00000000301C: BF8C0078
	v_mul_u32_u24_dpp v38, v17, v51 row_newbcast:0 row_mask:0xf bank_mask:0xf// 000000003020: 104C66FA FF015011
	v_mul_u32_u24_dpp v39, v17, v51 row_newbcast:4 row_mask:0xf bank_mask:0xf// 000000003028: 104E66FA FF015411
	v_mul_u32_u24_dpp v40, v17, v51 row_newbcast:8 row_mask:0xf bank_mask:0xf// 000000003030: 105066FA FF015811
	v_mul_u32_u24_dpp v41, v17, v51 row_newbcast:12 row_mask:0xf bank_mask:0xf// 000000003038: 105266FA FF015C11
	v_add_u32_e32 v26, v38, v6                                 // 000000003040: 68340D26
	v_add_u32_e32 v27, v39, v6                                 // 000000003044: 68360D27
	v_add_u32_e32 v28, v40, v6                                 // 000000003048: 68380D28
	v_add_u32_e32 v29, v41, v6                                 // 00000000304C: 683A0D29
	v_mul_u32_u24_dpp v38, v17, v61 quad_perm:[0,0,0,0] row_mask:0xf bank_mask:0xf// 000000003050: 104C7AFA FF000011
	v_add_u32_e32 v3, v38, v57                                 // 000000003058: 68067326
	v_mul_u32_u24_dpp v38, v17, v61 quad_perm:[0,0,0,0] row_mask:0xf bank_mask:0xf// 00000000305C: 104C7AFA FF000011
	v_add_u32_e32 v54, v38, v58                                // 000000003064: 686C7526
	v_mfma_i32_16x16x32_i8 v[88:91], a[0:1], v[80:81], 0       // 000000003068: D3D70058 0A02A100
	buffer_load_dwordx4 a[32:35], v26, s[16:19], 0 offen       // 000000003070: E05C1000 8084201A
	v_mfma_i32_16x16x32_i8 v[88:91], a[2:3], v[82:83], v[88:91]// 000000003078: D3D70058 0D62A502
	v_mfma_i32_16x16x32_i8 v[88:91], a[4:5], v[84:85], v[88:91]// 000000003080: D3D70058 0D62A904
	buffer_load_dword v16, v1, s[24:27], 0 offen               // 000000003088: E0501000 80061001
	v_mfma_i32_16x16x32_i8 v[88:91], a[6:7], v[86:87], v[88:91]// 000000003090: D3D70058 0D62AD06
	v_mfma_i32_16x16x32_i8 v[92:95], a[8:9], v[80:81], 0       // 000000003098: D3D7005C 0A02A108
	buffer_load_dwordx4 a[36:39], v26, s[16:19], 0 offen offset:1024// 0000000030A0: E05C1400 8084241A
	v_mfma_i32_16x16x32_i8 v[92:95], a[10:11], v[82:83], v[92:95]// 0000000030A8: D3D7005C 0D72A50A
	v_mfma_i32_16x16x32_i8 v[92:95], a[12:13], v[84:85], v[92:95]// 0000000030B0: D3D7005C 0D72A90C
	v_mfma_i32_16x16x32_i8 v[92:95], a[14:15], v[86:87], v[92:95]// 0000000030B8: D3D7005C 0D72AD0E
	v_mfma_i32_16x16x32_i8 v[96:99], a[16:17], v[80:81], 0     // 0000000030C0: D3D70060 0A02A110
	buffer_load_dwordx4 a[40:43], v27, s[16:19], 0 offen       // 0000000030C8: E05C1000 8084281B
	v_mfma_i32_16x16x32_i8 v[96:99], a[18:19], v[82:83], v[96:99]// 0000000030D0: D3D70060 0D82A512
	v_mfma_i32_16x16x32_i8 v[96:99], a[20:21], v[84:85], v[96:99]// 0000000030D8: D3D70060 0D82A914
	v_mfma_i32_16x16x32_i8 v[96:99], a[22:23], v[86:87], v[96:99]// 0000000030E0: D3D70060 0D82AD16
	v_mfma_i32_16x16x32_i8 v[100:103], a[24:25], v[80:81], 0   // 0000000030E8: D3D70064 0A02A118
	buffer_load_dwordx4 a[44:47], v27, s[16:19], 0 offen offset:1024// 0000000030F0: E05C1400 80842C1B
	v_mfma_i32_16x16x32_i8 v[100:103], a[26:27], v[82:83], v[100:103]// 0000000030F8: D3D70064 0D92A51A
	v_mfma_i32_16x16x32_i8 v[100:103], a[28:29], v[84:85], v[100:103]// 000000003100: D3D70064 0D92A91C
	v_mfma_i32_16x16x32_i8 v[100:103], a[30:31], v[86:87], v[100:103]// 000000003108: D3D70064 0D92AD1E
	buffer_load_dword v45, v3, s[32:35], 0 offen               // 000000003110: E0501000 80082D03
	v_mov_b32_dpp v38, v44 row_shr:4 row_mask:0xf bank_mask:0xf// 000000003118: 7E4C02FA FF01142C
	v_mov_b32_dpp v39, v44 row_shl:4 row_mask:0xf bank_mask:0xf// 000000003120: 7E4E02FA FF01042C
	v_cndmask_b32_e64 v124, v44, v38, s[44:45]                 // 000000003128: D100007C 00B24D2C
	v_cndmask_b32_e64 v125, v39, v44, s[44:45]                 // 000000003130: D100007D 00B25927
	v_mov_b32_dpp v38, v55 row_shr:4 row_mask:0xf bank_mask:0xf// 000000003138: 7E4C02FA FF011437
	v_mov_b32_dpp v39, v55 row_shl:4 row_mask:0xf bank_mask:0xf// 000000003140: 7E4E02FA FF010437
	v_cndmask_b32_e64 v126, v55, v38, s[44:45]                 // 000000003148: D100007E 00B24D37
	v_cndmask_b32_e64 v127, v39, v55, s[44:45]                 // 000000003150: D100007F 00B26F27
	v_or_b32_dpp v88, v96, v88 row_shr:8 row_mask:0xf bank_mask:0xf bound_ctrl:1// 000000003158: 28B0B0FA FF091860
	v_or_b32_dpp v89, v97, v89 row_shr:8 row_mask:0xf bank_mask:0xf bound_ctrl:1// 000000003160: 28B2B2FA FF091861
	v_or_b32_dpp v90, v98, v90 row_shr:8 row_mask:0xf bank_mask:0xf bound_ctrl:1// 000000003168: 28B4B4FA FF091862
	v_or_b32_dpp v91, v99, v91 row_shr:8 row_mask:0xf bank_mask:0xf bound_ctrl:1// 000000003170: 28B6B6FA FF091863
	v_or_b32_dpp v92, v100, v92 row_shr:8 row_mask:0xf bank_mask:0xf bound_ctrl:1// 000000003178: 28B8B8FA FF091864
	v_or_b32_dpp v93, v101, v93 row_shr:8 row_mask:0xf bank_mask:0xf bound_ctrl:1// 000000003180: 28BABAFA FF091865
	v_or_b32_dpp v94, v102, v94 row_shr:8 row_mask:0xf bank_mask:0xf bound_ctrl:1// 000000003188: 28BCBCFA FF091866
	v_or_b32_dpp v95, v103, v95 row_shr:8 row_mask:0xf bank_mask:0xf bound_ctrl:1// 000000003190: 28BEBEFA FF091867
	buffer_load_dword v56, v54, s[36:39], 0 offen              // 000000003198: E0501000 80093836
	v_cvt_f32_i32_e32 v88, v88                                 // 0000000031A0: 7EB00B58
	v_cvt_f32_i32_e32 v89, v89                                 // 0000000031A4: 7EB20B59
	v_cvt_f32_i32_e32 v90, v90                                 // 0000000031A8: 7EB40B5A
	v_cvt_f32_i32_e32 v91, v91                                 // 0000000031AC: 7EB60B5B
	v_cvt_f32_i32_e32 v92, v92                                 // 0000000031B0: 7EB80B5C
	v_cvt_f32_i32_e32 v93, v93                                 // 0000000031B4: 7EBA0B5D
	v_cvt_f32_i32_e32 v94, v94                                 // 0000000031B8: 7EBC0B5E
	v_cvt_f32_i32_e32 v95, v95                                 // 0000000031BC: 7EBE0B5F
	v_mul_f32_e32 v88, v46, v88                                // 0000000031C0: 0AB0B12E
	v_mul_f32_e32 v89, v46, v89                                // 0000000031C4: 0AB2B32E
	v_mul_f32_e32 v90, v46, v90                                // 0000000031C8: 0AB4B52E
	v_mul_f32_e32 v91, v46, v91                                // 0000000031CC: 0AB6B72E
	v_mul_f32_e32 v92, v46, v92                                // 0000000031D0: 0AB8B92E
	v_mul_f32_e32 v93, v46, v93                                // 0000000031D4: 0ABABB2E
	v_mul_f32_e32 v94, v46, v94                                // 0000000031D8: 0ABCBD2E
	v_mul_f32_e32 v95, v46, v95                                // 0000000031DC: 0ABEBF2E
	buffer_load_dwordx4 a[48:51], v28, s[16:19], 0 offen       // 0000000031E0: E05C1000 8084301C
	v_mul_f32_dpp v88, v124, v88 quad_perm:[0,0,0,0] row_mask:0xf bank_mask:0xf// 0000000031E8: 0AB0B0FA FF00007C
	v_mul_f32_dpp v89, v124, v89 quad_perm:[1,1,1,1] row_mask:0xf bank_mask:0xf// 0000000031F0: 0AB2B2FA FF00557C
	v_mul_f32_dpp v90, v124, v90 quad_perm:[2,2,2,2] row_mask:0xf bank_mask:0xf// 0000000031F8: 0AB4B4FA FF00AA7C
	v_mul_f32_dpp v91, v124, v91 quad_perm:[3,3,3,3] row_mask:0xf bank_mask:0xf// 000000003200: 0AB6B6FA FF00FF7C
	v_mul_f32_dpp v92, v125, v92 quad_perm:[0,0,0,0] row_mask:0xf bank_mask:0xf// 000000003208: 0AB8B8FA FF00007D
	v_mul_f32_dpp v93, v125, v93 quad_perm:[1,1,1,1] row_mask:0xf bank_mask:0xf// 000000003210: 0ABABAFA FF00557D
	v_mul_f32_dpp v94, v125, v94 quad_perm:[2,2,2,2] row_mask:0xf bank_mask:0xf// 000000003218: 0ABCBCFA FF00AA7D
	v_mul_f32_dpp v95, v125, v95 quad_perm:[3,3,3,3] row_mask:0xf bank_mask:0xf// 000000003220: 0ABEBEFA FF00FF7D
	buffer_load_dwordx4 a[52:55], v28, s[16:19], 0 offen offset:1024// 000000003228: E05C1400 8084341C
	v_mov_b32_e32 v48, v88                                     // 000000003230: 7E600358
	v_max3_f32 v48, v88, v89, v48                              // 000000003234: D1D30030 04C2B358
	v_max3_f32 v48, v90, v91, v48                              // 00000000323C: D1D30030 04C2B75A
	v_max3_f32 v48, v92, v93, v48                              // 000000003244: D1D30030 04C2BB5C
	v_max3_f32 v48, v94, v95, v48                              // 00000000324C: D1D30030 04C2BF5E
	ds_write_b32 v11, v48 offset:4224                          // 000000003254: D81A1080 0000300B
	buffer_load_dwordx4 a[56:59], v29, s[16:19], 0 offen       // 00000000325C: E05C1000 8084381D
	v_mul_u32_u24_dpp v38, v17, v51 row_newbcast:1 row_mask:0xf bank_mask:0xf// 000000003264: 104C66FA FF015111
	v_mul_u32_u24_dpp v39, v17, v51 row_newbcast:5 row_mask:0xf bank_mask:0xf// 00000000326C: 104E66FA FF015511
	v_mul_u32_u24_dpp v40, v17, v51 row_newbcast:9 row_mask:0xf bank_mask:0xf// 000000003274: 105066FA FF015911
	v_mul_u32_u24_dpp v41, v17, v51 row_newbcast:13 row_mask:0xf bank_mask:0xf// 00000000327C: 105266FA FF015D11
	v_add_u32_e32 v34, v38, v7                                 // 000000003284: 68440F26
	v_add_u32_e32 v35, v39, v7                                 // 000000003288: 68460F27
	v_add_u32_e32 v36, v40, v7                                 // 00000000328C: 68480F28
	v_add_u32_e32 v37, v41, v7                                 // 000000003290: 684A0F29
	s_waitcnt lgkmcnt(0)                                       // 000000003294: BF8CC07F
	s_barrier                                                  // 000000003298: BF8A0000
	ds_read_b32 v64, v10 offset:4224                           // 00000000329C: D86C1080 4000000A
	ds_read_b32 v65, v10 offset:4288                           // 0000000032A4: D86C10C0 4100000A
	ds_read_b32 v66, v10 offset:4352                           // 0000000032AC: D86C1100 4200000A
	ds_read_b32 v67, v10 offset:4416                           // 0000000032B4: D86C1140 4300000A
	ds_read_b32 v68, v10 offset:4480                           // 0000000032BC: D86C1180 4400000A
	ds_read_b32 v69, v10 offset:4544                           // 0000000032C4: D86C11C0 4500000A
	ds_read_b32 v70, v10 offset:4608                           // 0000000032CC: D86C1200 4600000A
	ds_read_b32 v71, v10 offset:4672                           // 0000000032D4: D86C1240 4700000A
	ds_read_b32 v72, v10 offset:4736                           // 0000000032DC: D86C1280 4800000A
	ds_read_b32 v73, v10 offset:4800                           // 0000000032E4: D86C12C0 4900000A
	ds_read_b32 v74, v10 offset:4864                           // 0000000032EC: D86C1300 4A00000A
	ds_read_b32 v75, v10 offset:4928                           // 0000000032F4: D86C1340 4B00000A
	ds_read_b32 v76, v10 offset:4992                           // 0000000032FC: D86C1380 4C00000A
	ds_read_b32 v77, v10 offset:5056                           // 000000003304: D86C13C0 4D00000A
	ds_read_b32 v78, v10 offset:5120                           // 00000000330C: D86C1400 4E00000A
	ds_read_b32 v79, v10 offset:5184                           // 000000003314: D86C1440 4F00000A
	buffer_load_dwordx4 a[60:63], v29, s[16:19], 0 offen offset:1024// 00000000331C: E05C1400 80843C1D
	v_mul_f32_e32 v112, v49, v112                              // 000000003324: 0AE0E131
	v_mul_f32_e32 v113, v49, v113                              // 000000003328: 0AE2E331
	v_mul_f32_e32 v114, v49, v114                              // 00000000332C: 0AE4E531
	v_mul_f32_e32 v115, v49, v115                              // 000000003330: 0AE6E731
	v_or_b32_dpp v104, v108, v104 row_shr:8 row_mask:0xf bank_mask:0xf bound_ctrl:1// 000000003334: 28D0D0FA FF09186C
	v_or_b32_dpp v105, v109, v105 row_shr:8 row_mask:0xf bank_mask:0xf bound_ctrl:1// 00000000333C: 28D2D2FA FF09186D
	v_or_b32_dpp v106, v110, v106 row_shr:8 row_mask:0xf bank_mask:0xf bound_ctrl:1// 000000003344: 28D4D4FA FF09186E
	v_or_b32_dpp v107, v111, v107 row_shr:8 row_mask:0xf bank_mask:0xf bound_ctrl:1// 00000000334C: 28D6D6FA FF09186F
	s_waitcnt lgkmcnt(0)                                       // 000000003354: BF8CC07F
	v_max3_f32 v48, v64, v65, v48                              // 000000003358: D1D30030 04C28340
	v_max3_f32 v48, v66, v67, v48                              // 000000003360: D1D30030 04C28742
	v_max3_f32 v48, v68, v69, v48                              // 000000003368: D1D30030 04C28B44
	v_max3_f32 v48, v70, v71, v48                              // 000000003370: D1D30030 04C28F46
	v_max3_f32 v48, v72, v73, v48                              // 000000003378: D1D30030 04C29348
	v_max3_f32 v48, v74, v75, v48                              // 000000003380: D1D30030 04C2974A
	v_max3_f32 v48, v76, v77, v48                              // 000000003388: D1D30030 04C29B4C
	v_max3_f32 v48, v78, v79, v48                              // 000000003390: D1D30030 04C29F4E
	buffer_load_dwordx4 a[96:99], v34, s[20:23], 0 offen       // 000000003398: E05C1000 80856022
	v_cmp_eq_u32_e64 s[40:41], v52, v14                        // 0000000033A0: D0CA0028 00021D34
	s_nop 1                                                    // 0000000033A8: BF800001
	v_mov_b32_dpp v38, v48 row_ror:8 row_mask:0xf bank_mask:0xf// 0000000033AC: 7E4C02FA FF012830
	v_max_f32_e32 v48, v48, v38                                // 0000000033B4: 16604D30
	v_max_f32_e32 v15, v48, v14                                // 0000000033B8: 161E1D30
	v_mul_f32_e32 v50, s64, v15                                // 0000000033BC: 0A641E40
	v_fma_f32 v88, v88, s64, -v50                              // 0000000033C0: D1CB0058 84C88158
	v_fma_f32 v89, v89, s64, -v50                              // 0000000033C8: D1CB0059 84C88159
	v_fma_f32 v90, v90, s64, -v50                              // 0000000033D0: D1CB005A 84C8815A
	v_fma_f32 v91, v91, s64, -v50                              // 0000000033D8: D1CB005B 84C8815B
	v_fma_f32 v92, v92, s64, -v50                              // 0000000033E0: D1CB005C 84C8815C
	v_fma_f32 v93, v93, s64, -v50                              // 0000000033E8: D1CB005D 84C8815D
	v_fma_f32 v94, v94, s64, -v50                              // 0000000033F0: D1CB005E 84C8815E
	v_fma_f32 v95, v95, s64, -v50                              // 0000000033F8: D1CB005F 84C8815F
	buffer_load_dwordx4 a[100:103], v35, s[20:23], 0 offen     // 000000003400: E05C1000 80856423
	v_exp_f32_e32 v88, v88                                     // 000000003408: 7EB04158
	v_exp_f32_e32 v89, v89                                     // 00000000340C: 7EB24159
	v_exp_f32_e32 v90, v90                                     // 000000003410: 7EB4415A
	v_exp_f32_e32 v91, v91                                     // 000000003414: 7EB6415B
	v_exp_f32_e32 v92, v92                                     // 000000003418: 7EB8415C
	v_exp_f32_e32 v93, v93                                     // 00000000341C: 7EBA415D
	v_exp_f32_e32 v94, v94                                     // 000000003420: 7EBC415E
	v_exp_f32_e32 v95, v95                                     // 000000003424: 7EBE415F
	buffer_load_dwordx4 a[104:107], v36, s[20:23], 0 offen     // 000000003428: E05C1000 80856824
	v_mul_f32_dpp v128, v126, v88 quad_perm:[0,0,0,0] row_mask:0xf bank_mask:0xf// 000000003430: 0B00B0FA FF00007E
	v_mul_f32_dpp v129, v126, v89 quad_perm:[1,1,1,1] row_mask:0xf bank_mask:0xf// 000000003438: 0B02B2FA FF00557E
	v_mul_f32_dpp v130, v126, v90 quad_perm:[2,2,2,2] row_mask:0xf bank_mask:0xf// 000000003440: 0B04B4FA FF00AA7E
	v_mul_f32_dpp v131, v126, v91 quad_perm:[3,3,3,3] row_mask:0xf bank_mask:0xf// 000000003448: 0B06B6FA FF00FF7E
	v_mul_f32_dpp v18, v127, v92 quad_perm:[0,0,0,0] row_mask:0xf bank_mask:0xf// 000000003450: 0A24B8FA FF00007F
	v_mul_f32_dpp v19, v127, v93 quad_perm:[1,1,1,1] row_mask:0xf bank_mask:0xf// 000000003458: 0A26BAFA FF00557F
	v_mul_f32_dpp v20, v127, v94 quad_perm:[2,2,2,2] row_mask:0xf bank_mask:0xf// 000000003460: 0A28BCFA FF00AA7F
	v_mul_f32_dpp v21, v127, v95 quad_perm:[3,3,3,3] row_mask:0xf bank_mask:0xf// 000000003468: 0A2ABEFA FF00FF7F
	v_mov_b32_e32 v48, 0x358637bd                              // 000000003470: 7E6002FF 358637BD
	v_max3_f32 v48, |v128|, |v129|, v48                        // 000000003478: D1D30330 04C30380
	v_max3_f32 v48, |v130|, |v131|, v48                        // 000000003480: D1D30330 04C30782
	v_max3_f32 v48, |v18|, |v19|, v48                          // 000000003488: D1D30330 04C22712
	v_max3_f32 v48, |v20|, |v21|, v48                          // 000000003490: D1D30330 04C22B14
	buffer_load_dwordx4 a[108:111], v37, s[20:23], 0 offen     // 000000003498: E05C1000 80856C25
	ds_write_b32 v11, v48 offset:5248                          // 0000000034A0: D81A1480 0000300B
	v_sub_f32_e32 v49, v14, v15                                // 0000000034A8: 04621F0E
	v_cndmask_b32_e64 v49, v49, 0, s[40:41]                    // 0000000034AC: D1000031 00A10131
	v_mov_b32_e32 v14, v15                                     // 0000000034B4: 7E1C030F
	v_mul_f32_e32 v49, s64, v49                                // 0000000034B8: 0A626240
	v_exp_f32_e32 v49, v49                                     // 0000000034BC: 7E624131
	s_waitcnt lgkmcnt(0)                                       // 0000000034C0: BF8CC07F
	s_barrier                                                  // 0000000034C4: BF8A0000
	ds_read_b32 v64, v10 offset:5248                           // 0000000034C8: D86C1480 4000000A
	ds_read_b32 v65, v10 offset:5312                           // 0000000034D0: D86C14C0 4100000A
	ds_read_b32 v66, v10 offset:5376                           // 0000000034D8: D86C1500 4200000A
	ds_read_b32 v67, v10 offset:5440                           // 0000000034E0: D86C1540 4300000A
	ds_read_b32 v68, v10 offset:5504                           // 0000000034E8: D86C1580 4400000A
	ds_read_b32 v69, v10 offset:5568                           // 0000000034F0: D86C15C0 4500000A
	ds_read_b32 v70, v10 offset:5632                           // 0000000034F8: D86C1600 4600000A
	ds_read_b32 v71, v10 offset:5696                           // 000000003500: D86C1640 4700000A
	ds_read_b32 v72, v10 offset:5760                           // 000000003508: D86C1680 4800000A
	ds_read_b32 v73, v10 offset:5824                           // 000000003510: D86C16C0 4900000A
	ds_read_b32 v74, v10 offset:5888                           // 000000003518: D86C1700 4A00000A
	ds_read_b32 v75, v10 offset:5952                           // 000000003520: D86C1740 4B00000A
	ds_read_b32 v76, v10 offset:6016                           // 000000003528: D86C1780 4C00000A
	ds_read_b32 v77, v10 offset:6080                           // 000000003530: D86C17C0 4D00000A
	ds_read_b32 v78, v10 offset:6144                           // 000000003538: D86C1800 4E00000A
	ds_read_b32 v79, v10 offset:6208                           // 000000003540: D86C1840 4F00000A
	v_mul_f32_e32 v42, v49, v42                                // 000000003548: 0A545531
	v_mov_b32_e32 v43, v88                                     // 00000000354C: 7E560358
	v_add_f32_e32 v43, v89, v43                                // 000000003550: 02565759
	v_add_f32_e32 v43, v90, v43                                // 000000003554: 0256575A
	v_add_f32_e32 v43, v91, v43                                // 000000003558: 0256575B
	v_add_f32_e32 v43, v92, v43                                // 00000000355C: 0256575C
	v_add_f32_e32 v43, v93, v43                                // 000000003560: 0256575D
	v_add_f32_e32 v43, v94, v43                                // 000000003564: 0256575E
	v_add_f32_e32 v43, v95, v43                                // 000000003568: 0256575F
	v_add_f32_e32 v42, v43, v42                                // 00000000356C: 0254552B
	s_waitcnt lgkmcnt(0)                                       // 000000003570: BF8CC07F
	v_max3_f32 v48, |v64|, |v65|, v48                          // 000000003574: D1D30330 04C28340
	v_max3_f32 v48, |v66|, |v67|, v48                          // 00000000357C: D1D30330 04C28742
	v_max3_f32 v48, |v68|, |v69|, v48                          // 000000003584: D1D30330 04C28B44
	v_max3_f32 v48, |v70|, |v71|, v48                          // 00000000358C: D1D30330 04C28F46
	v_max3_f32 v48, |v72|, |v73|, v48                          // 000000003594: D1D30330 04C29348
	v_max3_f32 v48, |v74|, |v75|, v48                          // 00000000359C: D1D30330 04C2974A
	v_max3_f32 v48, |v76|, |v77|, v48                          // 0000000035A4: D1D30330 04C29B4C
	v_max3_f32 v48, |v78|, |v79|, v48                          // 0000000035AC: D1D30330 04C29F4E
	s_nop 2                                                    // 0000000035B4: BF800002
	v_mov_b32_dpp v38, v48 row_ror:8 row_mask:0xf bank_mask:0xf// 0000000035B8: 7E4C02FA FF012830
	v_max_f32_e32 v48, v48, v38                                // 0000000035C0: 16604D30
	v_rcp_f32_e32 v48, v48                                     // 0000000035C4: 7E604530
	s_nop 1                                                    // 0000000035C8: BF800001
	v_mul_f32_e32 v48, 0x42fe0000, v48                         // 0000000035CC: 0A6060FF 42FE0000
	v_mul_f32_e32 v88, v48, v128                               // 0000000035D4: 0AB10130
	v_mul_f32_e32 v89, v48, v129                               // 0000000035D8: 0AB30330
	v_mul_f32_e32 v90, v48, v130                               // 0000000035DC: 0AB50530
	v_mul_f32_e32 v91, v48, v131                               // 0000000035E0: 0AB70730
	v_mul_f32_e32 v92, v48, v18                                // 0000000035E4: 0AB82530
	v_mul_f32_e32 v93, v48, v19                                // 0000000035E8: 0ABA2730
	v_mul_f32_e32 v94, v48, v20                                // 0000000035EC: 0ABC2930
	v_mul_f32_e32 v95, v48, v21                                // 0000000035F0: 0ABE2B30
	v_cvt_i32_f32_e32 v88, v88                                 // 0000000035F4: 7EB01158
	v_cvt_i32_f32_e32 v89, v89                                 // 0000000035F8: 7EB21159
	v_cvt_i32_f32_e32 v90, v90                                 // 0000000035FC: 7EB4115A
	v_cvt_i32_f32_e32 v91, v91                                 // 000000003600: 7EB6115B
	v_cvt_i32_f32_e32 v92, v92                                 // 000000003604: 7EB8115C
	v_cvt_i32_f32_e32 v93, v93                                 // 000000003608: 7EBA115D
	v_cvt_i32_f32_e32 v94, v94                                 // 00000000360C: 7EBC115E
	v_cvt_i32_f32_e32 v95, v95                                 // 000000003610: 7EBE115F
	v_perm_b32 v88, v89, v88, s53                              // 000000003614: D1ED0058 00D6B159
	v_perm_b32 v88, v90, v88, s54                              // 00000000361C: D1ED0058 00DAB15A
	v_perm_b32 v88, v91, v88, s55                              // 000000003624: D1ED0058 00DEB15B
	v_perm_b32 v89, v93, v92, s53                              // 00000000362C: D1ED0059 00D6B95D
	v_perm_b32 v89, v94, v89, s54                              // 000000003634: D1ED0059 00DAB35E
	v_perm_b32 v89, v95, v89, s55                              // 00000000363C: D1ED0059 00DEB35F
	ds_write_b32 v13, v88 offset:6272                          // 000000003644: D81A1880 0000580D
	ds_write_b32 v13, v89 offset:7296                          // 00000000364C: D81A1C80 0000590D
	v_cvt_f32_i32_e32 v104, v104                               // 000000003654: 7ED00B68
	v_cvt_f32_i32_e32 v105, v105                               // 000000003658: 7ED20B69
	v_cvt_f32_i32_e32 v106, v106                               // 00000000365C: 7ED40B6A
	v_cvt_f32_i32_e32 v107, v107                               // 000000003660: 7ED60B6B
	v_mul_f32_e32 v104, v47, v104                              // 000000003664: 0AD0D12F
	v_mul_f32_e32 v105, v47, v105                              // 000000003668: 0AD2D32F
	v_mul_f32_e32 v106, v47, v106                              // 00000000366C: 0AD4D52F
	v_mul_f32_e32 v107, v47, v107                              // 000000003670: 0AD6D72F
	v_rcp_f32_e32 v47, v48                                     // 000000003674: 7E5E4530
	s_waitcnt lgkmcnt(0)                                       // 000000003678: BF8CC07F
	s_barrier                                                  // 00000000367C: BF8A0000
	ds_read_b64 v[88:89], v12 offset:6272                      // 000000003680: D8EC1880 5800000C
	ds_read_b64 v[90:91], v12 offset:6400                      // 000000003688: D8EC1900 5A00000C
	ds_read_b64 v[92:93], v12 offset:7296                      // 000000003690: D8EC1C80 5C00000C
	ds_read_b64 v[94:95], v12 offset:7424                      // 000000003698: D8EC1D00 5E00000C
	v_add_f32_e32 v112, v112, v104                             // 0000000036A0: 02E0D170
	v_add_f32_e32 v113, v113, v105                             // 0000000036A4: 02E2D371
	v_add_f32_e32 v114, v114, v106                             // 0000000036A8: 02E4D572
	v_add_f32_e32 v115, v115, v107                             // 0000000036AC: 02E6D773
	s_waitcnt lgkmcnt(3)                                       // 0000000036B0: BF8CC37F
	v_mov_b32_dpp v96, v88 row_shl:8 row_mask:0xf bank_mask:0xf bound_ctrl:1// 0000000036B4: 7EC002FA FF090858
	v_and_b32_e32 v88, v88, v9                                 // 0000000036BC: 26B01358
	v_mov_b32_dpp v97, v89 row_shl:8 row_mask:0xf bank_mask:0xf bound_ctrl:1// 0000000036C0: 7EC202FA FF090859
	v_and_b32_e32 v89, v89, v9                                 // 0000000036C8: 26B21359
	s_waitcnt lgkmcnt(2)                                       // 0000000036CC: BF8CC27F
	v_mov_b32_dpp v98, v90 row_shl:8 row_mask:0xf bank_mask:0xf bound_ctrl:1// 0000000036D0: 7EC402FA FF09085A
	v_and_b32_e32 v90, v90, v9                                 // 0000000036D8: 26B4135A
	v_mov_b32_dpp v99, v91 row_shl:8 row_mask:0xf bank_mask:0xf bound_ctrl:1// 0000000036DC: 7EC602FA FF09085B
	v_and_b32_e32 v91, v91, v9                                 // 0000000036E4: 26B6135B
	s_waitcnt lgkmcnt(1)                                       // 0000000036E8: BF8CC17F
	v_mov_b32_dpp v100, v92 row_shl:8 row_mask:0xf bank_mask:0xf bound_ctrl:1// 0000000036EC: 7EC802FA FF09085C
	v_and_b32_e32 v92, v92, v9                                 // 0000000036F4: 26B8135C
	v_mov_b32_dpp v101, v93 row_shl:8 row_mask:0xf bank_mask:0xf bound_ctrl:1// 0000000036F8: 7ECA02FA FF09085D
	v_and_b32_e32 v93, v93, v9                                 // 000000003700: 26BA135D
	s_waitcnt lgkmcnt(0)                                       // 000000003704: BF8CC07F
	v_mov_b32_dpp v102, v94 row_shl:8 row_mask:0xf bank_mask:0xf bound_ctrl:1// 000000003708: 7ECC02FA FF09085E
	v_and_b32_e32 v94, v94, v9                                 // 000000003710: 26BC135E
	v_mov_b32_dpp v103, v95 row_shl:8 row_mask:0xf bank_mask:0xf bound_ctrl:1// 000000003714: 7ECE02FA FF09085F
	v_and_b32_e32 v95, v95, v9                                 // 00000000371C: 26BE135F
	s_waitcnt vmcnt(15)                                        // 000000003720: BF8C0F7F
	v_mfma_i32_16x16x32_i8 v[104:107], a[64:65], v[88:89], 0   // 000000003724: D3D70068 0A02B140
	buffer_load_dwordx4 a[112:115], v34, s[20:23], 0 offen offset:1024// 00000000372C: E05C1400 80857022
	v_mfma_i32_16x16x32_i8 v[104:107], a[66:67], v[90:91], v[104:107]// 000000003734: D3D70068 0DA2B542
	v_mfma_i32_16x16x32_i8 v[104:107], a[68:69], v[92:93], v[104:107]// 00000000373C: D3D70068 0DA2B944
	v_mfma_i32_16x16x32_i8 v[104:107], a[70:71], v[94:95], v[104:107]// 000000003744: D3D70068 0DA2BD46
	v_mfma_i32_16x16x32_i8 v[104:107], a[72:73], v[96:97], v[104:107]// 00000000374C: D3D70068 0DA2C148
	buffer_load_dwordx4 a[116:119], v35, s[20:23], 0 offen offset:1024// 000000003754: E05C1400 80857423
	v_mfma_i32_16x16x32_i8 v[104:107], a[74:75], v[98:99], v[104:107]// 00000000375C: D3D70068 0DA2C54A
	v_mfma_i32_16x16x32_i8 v[104:107], a[76:77], v[100:101], v[104:107]// 000000003764: D3D70068 0DA2C94C
	v_mfma_i32_16x16x32_i8 v[104:107], a[78:79], v[102:103], v[104:107]// 00000000376C: D3D70068 0DA2CD4E
	v_mfma_i32_16x16x32_i8 v[108:111], a[80:81], v[88:89], 0   // 000000003774: D3D7006C 0A02B150
	buffer_load_dwordx4 a[120:123], v36, s[20:23], 0 offen offset:1024// 00000000377C: E05C1400 80857824
	v_mfma_i32_16x16x32_i8 v[108:111], a[82:83], v[90:91], v[108:111]// 000000003784: D3D7006C 0DB2B552
	v_mfma_i32_16x16x32_i8 v[108:111], a[84:85], v[92:93], v[108:111]// 00000000378C: D3D7006C 0DB2B954
	v_mfma_i32_16x16x32_i8 v[108:111], a[86:87], v[94:95], v[108:111]// 000000003794: D3D7006C 0DB2BD56
	v_mfma_i32_16x16x32_i8 v[108:111], a[88:89], v[96:97], v[108:111]// 00000000379C: D3D7006C 0DB2C158
	buffer_load_dwordx4 a[124:127], v37, s[20:23], 0 offen offset:1024// 0000000037A4: E05C1400 80857C25
	v_mfma_i32_16x16x32_i8 v[108:111], a[90:91], v[98:99], v[108:111]// 0000000037AC: D3D7006C 0DB2C55A
	v_mfma_i32_16x16x32_i8 v[108:111], a[92:93], v[100:101], v[108:111]// 0000000037B4: D3D7006C 0DB2C95C
	s_lshr_b32 s57, s70, 4                                     // 0000000037BC: 8F398446
	s_add_u32 s57, 48, s57                                     // 0000000037C0: 803939B0
	v_mfma_i32_16x16x32_i8 v[108:111], a[94:95], v[102:103], v[108:111]// 0000000037C4: D3D7006C 0DB2CD5E
	s_cmp_ge_u32 s57, s52                                      // 0000000037CC: BF093439
	s_cselect_b32 s56, 0, s56                                  // 0000000037D0: 85383880
	v_add_u32_e32 v1, s56, v1                                  // 0000000037D4: 68020238
	s_addk_i32 s70, 0x100                                      // 0000000037D8: B7460100
	s_cmp_lt_i32 s70, s71                                      // 0000000037DC: BF044746
	s_cbranch_scc0 label_05CF                                  // 0000000037E0: BF84FE0B
	s_waitcnt vmcnt(8) lgkmcnt(0)                              // 0000000037E4: BF8C0078
	v_mul_u32_u24_dpp v38, v16, v51 row_newbcast:0 row_mask:0xf bank_mask:0xf// 0000000037E8: 104C66FA FF015010
	v_mul_u32_u24_dpp v39, v16, v51 row_newbcast:4 row_mask:0xf bank_mask:0xf// 0000000037F0: 104E66FA FF015410
	v_mul_u32_u24_dpp v40, v16, v51 row_newbcast:8 row_mask:0xf bank_mask:0xf// 0000000037F8: 105066FA FF015810
	v_mul_u32_u24_dpp v41, v16, v51 row_newbcast:12 row_mask:0xf bank_mask:0xf// 000000003800: 105266FA FF015C10
	v_add_u32_e32 v22, v38, v6                                 // 000000003808: 682C0D26
	v_add_u32_e32 v23, v39, v6                                 // 00000000380C: 682E0D27
	v_add_u32_e32 v24, v40, v6                                 // 000000003810: 68300D28
	v_add_u32_e32 v25, v41, v6                                 // 000000003814: 68320D29
	v_mul_u32_u24_dpp v38, v16, v61 quad_perm:[0,0,0,0] row_mask:0xf bank_mask:0xf// 000000003818: 104C7AFA FF000010
	v_add_u32_e32 v2, v38, v57                                 // 000000003820: 68047326
	v_mul_u32_u24_dpp v38, v16, v61 quad_perm:[0,0,0,0] row_mask:0xf bank_mask:0xf// 000000003824: 104C7AFA FF000010
	v_add_u32_e32 v53, v38, v58                                // 00000000382C: 686A7526
	v_mfma_i32_16x16x32_i8 v[88:91], a[32:33], v[80:81], 0     // 000000003830: D3D70058 0A02A120
	buffer_load_dwordx4 a[0:3], v22, s[16:19], 0 offen         // 000000003838: E05C1000 80840016
	v_mfma_i32_16x16x32_i8 v[88:91], a[34:35], v[82:83], v[88:91]// 000000003840: D3D70058 0D62A522
	v_mfma_i32_16x16x32_i8 v[88:91], a[36:37], v[84:85], v[88:91]// 000000003848: D3D70058 0D62A924
	buffer_load_dword v17, v1, s[24:27], 0 offen               // 000000003850: E0501000 80061101
	v_mfma_i32_16x16x32_i8 v[88:91], a[38:39], v[86:87], v[88:91]// 000000003858: D3D70058 0D62AD26
	v_mfma_i32_16x16x32_i8 v[92:95], a[40:41], v[80:81], 0     // 000000003860: D3D7005C 0A02A128
	buffer_load_dwordx4 a[4:7], v22, s[16:19], 0 offen offset:1024// 000000003868: E05C1400 80840416
	v_mfma_i32_16x16x32_i8 v[92:95], a[42:43], v[82:83], v[92:95]// 000000003870: D3D7005C 0D72A52A
	v_mfma_i32_16x16x32_i8 v[92:95], a[44:45], v[84:85], v[92:95]// 000000003878: D3D7005C 0D72A92C
	v_mfma_i32_16x16x32_i8 v[92:95], a[46:47], v[86:87], v[92:95]// 000000003880: D3D7005C 0D72AD2E
	v_mfma_i32_16x16x32_i8 v[96:99], a[48:49], v[80:81], 0     // 000000003888: D3D70060 0A02A130
	buffer_load_dwordx4 a[8:11], v23, s[16:19], 0 offen        // 000000003890: E05C1000 80840817
	v_mfma_i32_16x16x32_i8 v[96:99], a[50:51], v[82:83], v[96:99]// 000000003898: D3D70060 0D82A532
	v_mfma_i32_16x16x32_i8 v[96:99], a[52:53], v[84:85], v[96:99]// 0000000038A0: D3D70060 0D82A934
	v_mfma_i32_16x16x32_i8 v[96:99], a[54:55], v[86:87], v[96:99]// 0000000038A8: D3D70060 0D82AD36
	v_mfma_i32_16x16x32_i8 v[100:103], a[56:57], v[80:81], 0   // 0000000038B0: D3D70064 0A02A138
	buffer_load_dwordx4 a[12:15], v23, s[16:19], 0 offen offset:1024// 0000000038B8: E05C1400 80840C17
	v_mfma_i32_16x16x32_i8 v[100:103], a[58:59], v[82:83], v[100:103]// 0000000038C0: D3D70064 0D92A53A
	v_mfma_i32_16x16x32_i8 v[100:103], a[60:61], v[84:85], v[100:103]// 0000000038C8: D3D70064 0D92A93C
	v_mfma_i32_16x16x32_i8 v[100:103], a[62:63], v[86:87], v[100:103]// 0000000038D0: D3D70064 0D92AD3E
	buffer_load_dword v44, v2, s[32:35], 0 offen               // 0000000038D8: E0501000 80082C02
	v_mov_b32_dpp v38, v45 row_shr:4 row_mask:0xf bank_mask:0xf// 0000000038E0: 7E4C02FA FF01142D
	v_mov_b32_dpp v39, v45 row_shl:4 row_mask:0xf bank_mask:0xf// 0000000038E8: 7E4E02FA FF01042D
	v_cndmask_b32_e64 v124, v45, v38, s[44:45]                 // 0000000038F0: D100007C 00B24D2D
	v_cndmask_b32_e64 v125, v39, v45, s[44:45]                 // 0000000038F8: D100007D 00B25B27
	v_mov_b32_dpp v38, v56 row_shr:4 row_mask:0xf bank_mask:0xf// 000000003900: 7E4C02FA FF011438
	v_mov_b32_dpp v39, v56 row_shl:4 row_mask:0xf bank_mask:0xf// 000000003908: 7E4E02FA FF010438
	v_cndmask_b32_e64 v126, v56, v38, s[44:45]                 // 000000003910: D100007E 00B24D38
	v_cndmask_b32_e64 v127, v39, v56, s[44:45]                 // 000000003918: D100007F 00B27127
	v_or_b32_dpp v88, v96, v88 row_shr:8 row_mask:0xf bank_mask:0xf bound_ctrl:1// 000000003920: 28B0B0FA FF091860
	v_or_b32_dpp v89, v97, v89 row_shr:8 row_mask:0xf bank_mask:0xf bound_ctrl:1// 000000003928: 28B2B2FA FF091861
	v_or_b32_dpp v90, v98, v90 row_shr:8 row_mask:0xf bank_mask:0xf bound_ctrl:1// 000000003930: 28B4B4FA FF091862
	v_or_b32_dpp v91, v99, v91 row_shr:8 row_mask:0xf bank_mask:0xf bound_ctrl:1// 000000003938: 28B6B6FA FF091863
	v_or_b32_dpp v92, v100, v92 row_shr:8 row_mask:0xf bank_mask:0xf bound_ctrl:1// 000000003940: 28B8B8FA FF091864
	v_or_b32_dpp v93, v101, v93 row_shr:8 row_mask:0xf bank_mask:0xf bound_ctrl:1// 000000003948: 28BABAFA FF091865
	v_or_b32_dpp v94, v102, v94 row_shr:8 row_mask:0xf bank_mask:0xf bound_ctrl:1// 000000003950: 28BCBCFA FF091866
	v_or_b32_dpp v95, v103, v95 row_shr:8 row_mask:0xf bank_mask:0xf bound_ctrl:1// 000000003958: 28BEBEFA FF091867
	buffer_load_dword v55, v53, s[36:39], 0 offen              // 000000003960: E0501000 80093735
	v_cvt_f32_i32_e32 v88, v88                                 // 000000003968: 7EB00B58
	v_cvt_f32_i32_e32 v89, v89                                 // 00000000396C: 7EB20B59
	v_cvt_f32_i32_e32 v90, v90                                 // 000000003970: 7EB40B5A
	v_cvt_f32_i32_e32 v91, v91                                 // 000000003974: 7EB60B5B
	v_cvt_f32_i32_e32 v92, v92                                 // 000000003978: 7EB80B5C
	v_cvt_f32_i32_e32 v93, v93                                 // 00000000397C: 7EBA0B5D
	v_cvt_f32_i32_e32 v94, v94                                 // 000000003980: 7EBC0B5E
	v_cvt_f32_i32_e32 v95, v95                                 // 000000003984: 7EBE0B5F
	v_mul_f32_e32 v88, v46, v88                                // 000000003988: 0AB0B12E
	v_mul_f32_e32 v89, v46, v89                                // 00000000398C: 0AB2B32E
	v_mul_f32_e32 v90, v46, v90                                // 000000003990: 0AB4B52E
	v_mul_f32_e32 v91, v46, v91                                // 000000003994: 0AB6B72E
	v_mul_f32_e32 v92, v46, v92                                // 000000003998: 0AB8B92E
	v_mul_f32_e32 v93, v46, v93                                // 00000000399C: 0ABABB2E
	v_mul_f32_e32 v94, v46, v94                                // 0000000039A0: 0ABCBD2E
	v_mul_f32_e32 v95, v46, v95                                // 0000000039A4: 0ABEBF2E
	buffer_load_dwordx4 a[16:19], v24, s[16:19], 0 offen       // 0000000039A8: E05C1000 80841018
	v_mul_f32_dpp v88, v124, v88 quad_perm:[0,0,0,0] row_mask:0xf bank_mask:0xf// 0000000039B0: 0AB0B0FA FF00007C
	v_mul_f32_dpp v89, v124, v89 quad_perm:[1,1,1,1] row_mask:0xf bank_mask:0xf// 0000000039B8: 0AB2B2FA FF00557C
	v_mul_f32_dpp v90, v124, v90 quad_perm:[2,2,2,2] row_mask:0xf bank_mask:0xf// 0000000039C0: 0AB4B4FA FF00AA7C
	v_mul_f32_dpp v91, v124, v91 quad_perm:[3,3,3,3] row_mask:0xf bank_mask:0xf// 0000000039C8: 0AB6B6FA FF00FF7C
	v_mul_f32_dpp v92, v125, v92 quad_perm:[0,0,0,0] row_mask:0xf bank_mask:0xf// 0000000039D0: 0AB8B8FA FF00007D
	v_mul_f32_dpp v93, v125, v93 quad_perm:[1,1,1,1] row_mask:0xf bank_mask:0xf// 0000000039D8: 0ABABAFA FF00557D
	v_mul_f32_dpp v94, v125, v94 quad_perm:[2,2,2,2] row_mask:0xf bank_mask:0xf// 0000000039E0: 0ABCBCFA FF00AA7D
	v_mul_f32_dpp v95, v125, v95 quad_perm:[3,3,3,3] row_mask:0xf bank_mask:0xf// 0000000039E8: 0ABEBEFA FF00FF7D
	buffer_load_dwordx4 a[20:23], v24, s[16:19], 0 offen offset:1024// 0000000039F0: E05C1400 80841418
	v_mov_b32_e32 v48, v88                                     // 0000000039F8: 7E600358
	v_max3_f32 v48, v88, v89, v48                              // 0000000039FC: D1D30030 04C2B358
	v_max3_f32 v48, v90, v91, v48                              // 000000003A04: D1D30030 04C2B75A
	v_max3_f32 v48, v92, v93, v48                              // 000000003A0C: D1D30030 04C2BB5C
	v_max3_f32 v48, v94, v95, v48                              // 000000003A14: D1D30030 04C2BF5E
	ds_write_b32 v11, v48 offset:4224                          // 000000003A1C: D81A1080 0000300B
	buffer_load_dwordx4 a[24:27], v25, s[16:19], 0 offen       // 000000003A24: E05C1000 80841819
	v_mul_u32_u24_dpp v38, v16, v51 row_newbcast:1 row_mask:0xf bank_mask:0xf// 000000003A2C: 104C66FA FF015110
	v_mul_u32_u24_dpp v39, v16, v51 row_newbcast:5 row_mask:0xf bank_mask:0xf// 000000003A34: 104E66FA FF015510
	v_mul_u32_u24_dpp v40, v16, v51 row_newbcast:9 row_mask:0xf bank_mask:0xf// 000000003A3C: 105066FA FF015910
	v_mul_u32_u24_dpp v41, v16, v51 row_newbcast:13 row_mask:0xf bank_mask:0xf// 000000003A44: 105266FA FF015D10
	v_add_u32_e32 v30, v38, v7                                 // 000000003A4C: 683C0F26
	v_add_u32_e32 v31, v39, v7                                 // 000000003A50: 683E0F27
	v_add_u32_e32 v32, v40, v7                                 // 000000003A54: 68400F28
	v_add_u32_e32 v33, v41, v7                                 // 000000003A58: 68420F29
	s_waitcnt lgkmcnt(0)                                       // 000000003A5C: BF8CC07F
	s_barrier                                                  // 000000003A60: BF8A0000
	ds_read_b32 v64, v10 offset:4224                           // 000000003A64: D86C1080 4000000A
	ds_read_b32 v65, v10 offset:4288                           // 000000003A6C: D86C10C0 4100000A
	ds_read_b32 v66, v10 offset:4352                           // 000000003A74: D86C1100 4200000A
	ds_read_b32 v67, v10 offset:4416                           // 000000003A7C: D86C1140 4300000A
	ds_read_b32 v68, v10 offset:4480                           // 000000003A84: D86C1180 4400000A
	ds_read_b32 v69, v10 offset:4544                           // 000000003A8C: D86C11C0 4500000A
	ds_read_b32 v70, v10 offset:4608                           // 000000003A94: D86C1200 4600000A
	ds_read_b32 v71, v10 offset:4672                           // 000000003A9C: D86C1240 4700000A
	ds_read_b32 v72, v10 offset:4736                           // 000000003AA4: D86C1280 4800000A
	ds_read_b32 v73, v10 offset:4800                           // 000000003AAC: D86C12C0 4900000A
	ds_read_b32 v74, v10 offset:4864                           // 000000003AB4: D86C1300 4A00000A
	ds_read_b32 v75, v10 offset:4928                           // 000000003ABC: D86C1340 4B00000A
	ds_read_b32 v76, v10 offset:4992                           // 000000003AC4: D86C1380 4C00000A
	ds_read_b32 v77, v10 offset:5056                           // 000000003ACC: D86C13C0 4D00000A
	ds_read_b32 v78, v10 offset:5120                           // 000000003AD4: D86C1400 4E00000A
	ds_read_b32 v79, v10 offset:5184                           // 000000003ADC: D86C1440 4F00000A
	buffer_load_dwordx4 a[28:31], v25, s[16:19], 0 offen offset:1024// 000000003AE4: E05C1400 80841C19
	v_mul_f32_e32 v112, v49, v112                              // 000000003AEC: 0AE0E131
	v_mul_f32_e32 v113, v49, v113                              // 000000003AF0: 0AE2E331
	v_mul_f32_e32 v114, v49, v114                              // 000000003AF4: 0AE4E531
	v_mul_f32_e32 v115, v49, v115                              // 000000003AF8: 0AE6E731
	v_or_b32_dpp v104, v108, v104 row_shr:8 row_mask:0xf bank_mask:0xf bound_ctrl:1// 000000003AFC: 28D0D0FA FF09186C
	v_or_b32_dpp v105, v109, v105 row_shr:8 row_mask:0xf bank_mask:0xf bound_ctrl:1// 000000003B04: 28D2D2FA FF09186D
	v_or_b32_dpp v106, v110, v106 row_shr:8 row_mask:0xf bank_mask:0xf bound_ctrl:1// 000000003B0C: 28D4D4FA FF09186E
	v_or_b32_dpp v107, v111, v107 row_shr:8 row_mask:0xf bank_mask:0xf bound_ctrl:1// 000000003B14: 28D6D6FA FF09186F
	s_waitcnt lgkmcnt(0)                                       // 000000003B1C: BF8CC07F
	v_max3_f32 v48, v64, v65, v48                              // 000000003B20: D1D30030 04C28340
	v_max3_f32 v48, v66, v67, v48                              // 000000003B28: D1D30030 04C28742
	v_max3_f32 v48, v68, v69, v48                              // 000000003B30: D1D30030 04C28B44
	v_max3_f32 v48, v70, v71, v48                              // 000000003B38: D1D30030 04C28F46
	v_max3_f32 v48, v72, v73, v48                              // 000000003B40: D1D30030 04C29348
	v_max3_f32 v48, v74, v75, v48                              // 000000003B48: D1D30030 04C2974A
	v_max3_f32 v48, v76, v77, v48                              // 000000003B50: D1D30030 04C29B4C
	v_max3_f32 v48, v78, v79, v48                              // 000000003B58: D1D30030 04C29F4E
	buffer_load_dwordx4 a[64:67], v30, s[20:23], 0 offen       // 000000003B60: E05C1000 8085401E
	v_cmp_eq_u32_e64 s[40:41], v52, v14                        // 000000003B68: D0CA0028 00021D34
	s_nop 1                                                    // 000000003B70: BF800001
	v_mov_b32_dpp v38, v48 row_ror:8 row_mask:0xf bank_mask:0xf// 000000003B74: 7E4C02FA FF012830
	v_max_f32_e32 v48, v48, v38                                // 000000003B7C: 16604D30
	v_max_f32_e32 v15, v48, v14                                // 000000003B80: 161E1D30
	v_mul_f32_e32 v50, s64, v15                                // 000000003B84: 0A641E40
	v_fma_f32 v88, v88, s64, -v50                              // 000000003B88: D1CB0058 84C88158
	v_fma_f32 v89, v89, s64, -v50                              // 000000003B90: D1CB0059 84C88159
	v_fma_f32 v90, v90, s64, -v50                              // 000000003B98: D1CB005A 84C8815A
	v_fma_f32 v91, v91, s64, -v50                              // 000000003BA0: D1CB005B 84C8815B
	v_fma_f32 v92, v92, s64, -v50                              // 000000003BA8: D1CB005C 84C8815C
	v_fma_f32 v93, v93, s64, -v50                              // 000000003BB0: D1CB005D 84C8815D
	v_fma_f32 v94, v94, s64, -v50                              // 000000003BB8: D1CB005E 84C8815E
	v_fma_f32 v95, v95, s64, -v50                              // 000000003BC0: D1CB005F 84C8815F
	buffer_load_dwordx4 a[68:71], v31, s[20:23], 0 offen       // 000000003BC8: E05C1000 8085441F
	v_exp_f32_e32 v88, v88                                     // 000000003BD0: 7EB04158
	v_exp_f32_e32 v89, v89                                     // 000000003BD4: 7EB24159
	v_exp_f32_e32 v90, v90                                     // 000000003BD8: 7EB4415A
	v_exp_f32_e32 v91, v91                                     // 000000003BDC: 7EB6415B
	v_exp_f32_e32 v92, v92                                     // 000000003BE0: 7EB8415C
	v_exp_f32_e32 v93, v93                                     // 000000003BE4: 7EBA415D
	v_exp_f32_e32 v94, v94                                     // 000000003BE8: 7EBC415E
	v_exp_f32_e32 v95, v95                                     // 000000003BEC: 7EBE415F
	buffer_load_dwordx4 a[72:75], v32, s[20:23], 0 offen       // 000000003BF0: E05C1000 80854820
	v_mul_f32_dpp v128, v126, v88 quad_perm:[0,0,0,0] row_mask:0xf bank_mask:0xf// 000000003BF8: 0B00B0FA FF00007E
	v_mul_f32_dpp v129, v126, v89 quad_perm:[1,1,1,1] row_mask:0xf bank_mask:0xf// 000000003C00: 0B02B2FA FF00557E
	v_mul_f32_dpp v130, v126, v90 quad_perm:[2,2,2,2] row_mask:0xf bank_mask:0xf// 000000003C08: 0B04B4FA FF00AA7E
	v_mul_f32_dpp v131, v126, v91 quad_perm:[3,3,3,3] row_mask:0xf bank_mask:0xf// 000000003C10: 0B06B6FA FF00FF7E
	v_mul_f32_dpp v18, v127, v92 quad_perm:[0,0,0,0] row_mask:0xf bank_mask:0xf// 000000003C18: 0A24B8FA FF00007F
	v_mul_f32_dpp v19, v127, v93 quad_perm:[1,1,1,1] row_mask:0xf bank_mask:0xf// 000000003C20: 0A26BAFA FF00557F
	v_mul_f32_dpp v20, v127, v94 quad_perm:[2,2,2,2] row_mask:0xf bank_mask:0xf// 000000003C28: 0A28BCFA FF00AA7F
	v_mul_f32_dpp v21, v127, v95 quad_perm:[3,3,3,3] row_mask:0xf bank_mask:0xf// 000000003C30: 0A2ABEFA FF00FF7F
	v_mov_b32_e32 v48, 0x358637bd                              // 000000003C38: 7E6002FF 358637BD
	v_max3_f32 v48, |v128|, |v129|, v48                        // 000000003C40: D1D30330 04C30380
	v_max3_f32 v48, |v130|, |v131|, v48                        // 000000003C48: D1D30330 04C30782
	v_max3_f32 v48, |v18|, |v19|, v48                          // 000000003C50: D1D30330 04C22712
	v_max3_f32 v48, |v20|, |v21|, v48                          // 000000003C58: D1D30330 04C22B14
	buffer_load_dwordx4 a[76:79], v33, s[20:23], 0 offen       // 000000003C60: E05C1000 80854C21
	ds_write_b32 v11, v48 offset:5248                          // 000000003C68: D81A1480 0000300B
	v_sub_f32_e32 v49, v14, v15                                // 000000003C70: 04621F0E
	v_cndmask_b32_e64 v49, v49, 0, s[40:41]                    // 000000003C74: D1000031 00A10131
	v_mov_b32_e32 v14, v15                                     // 000000003C7C: 7E1C030F
	v_mul_f32_e32 v49, s64, v49                                // 000000003C80: 0A626240
	v_exp_f32_e32 v49, v49                                     // 000000003C84: 7E624131
	s_waitcnt lgkmcnt(0)                                       // 000000003C88: BF8CC07F
	s_barrier                                                  // 000000003C8C: BF8A0000
	ds_read_b32 v64, v10 offset:5248                           // 000000003C90: D86C1480 4000000A
	ds_read_b32 v65, v10 offset:5312                           // 000000003C98: D86C14C0 4100000A
	ds_read_b32 v66, v10 offset:5376                           // 000000003CA0: D86C1500 4200000A
	ds_read_b32 v67, v10 offset:5440                           // 000000003CA8: D86C1540 4300000A
	ds_read_b32 v68, v10 offset:5504                           // 000000003CB0: D86C1580 4400000A
	ds_read_b32 v69, v10 offset:5568                           // 000000003CB8: D86C15C0 4500000A
	ds_read_b32 v70, v10 offset:5632                           // 000000003CC0: D86C1600 4600000A
	ds_read_b32 v71, v10 offset:5696                           // 000000003CC8: D86C1640 4700000A
	ds_read_b32 v72, v10 offset:5760                           // 000000003CD0: D86C1680 4800000A
	ds_read_b32 v73, v10 offset:5824                           // 000000003CD8: D86C16C0 4900000A
	ds_read_b32 v74, v10 offset:5888                           // 000000003CE0: D86C1700 4A00000A
	ds_read_b32 v75, v10 offset:5952                           // 000000003CE8: D86C1740 4B00000A
	ds_read_b32 v76, v10 offset:6016                           // 000000003CF0: D86C1780 4C00000A
	ds_read_b32 v77, v10 offset:6080                           // 000000003CF8: D86C17C0 4D00000A
	ds_read_b32 v78, v10 offset:6144                           // 000000003D00: D86C1800 4E00000A
	ds_read_b32 v79, v10 offset:6208                           // 000000003D08: D86C1840 4F00000A
	v_mul_f32_e32 v42, v49, v42                                // 000000003D10: 0A545531
	v_mov_b32_e32 v43, v88                                     // 000000003D14: 7E560358
	v_add_f32_e32 v43, v89, v43                                // 000000003D18: 02565759
	v_add_f32_e32 v43, v90, v43                                // 000000003D1C: 0256575A
	v_add_f32_e32 v43, v91, v43                                // 000000003D20: 0256575B
	v_add_f32_e32 v43, v92, v43                                // 000000003D24: 0256575C
	v_add_f32_e32 v43, v93, v43                                // 000000003D28: 0256575D
	v_add_f32_e32 v43, v94, v43                                // 000000003D2C: 0256575E
	v_add_f32_e32 v43, v95, v43                                // 000000003D30: 0256575F
	v_add_f32_e32 v42, v43, v42                                // 000000003D34: 0254552B
	s_waitcnt lgkmcnt(0)                                       // 000000003D38: BF8CC07F
	v_max3_f32 v48, |v64|, |v65|, v48                          // 000000003D3C: D1D30330 04C28340
	v_max3_f32 v48, |v66|, |v67|, v48                          // 000000003D44: D1D30330 04C28742
	v_max3_f32 v48, |v68|, |v69|, v48                          // 000000003D4C: D1D30330 04C28B44
	v_max3_f32 v48, |v70|, |v71|, v48                          // 000000003D54: D1D30330 04C28F46
	v_max3_f32 v48, |v72|, |v73|, v48                          // 000000003D5C: D1D30330 04C29348
	v_max3_f32 v48, |v74|, |v75|, v48                          // 000000003D64: D1D30330 04C2974A
	v_max3_f32 v48, |v76|, |v77|, v48                          // 000000003D6C: D1D30330 04C29B4C
	v_max3_f32 v48, |v78|, |v79|, v48                          // 000000003D74: D1D30330 04C29F4E
	s_nop 2                                                    // 000000003D7C: BF800002
	v_mov_b32_dpp v38, v48 row_ror:8 row_mask:0xf bank_mask:0xf// 000000003D80: 7E4C02FA FF012830
	v_max_f32_e32 v48, v48, v38                                // 000000003D88: 16604D30
	v_rcp_f32_e32 v48, v48                                     // 000000003D8C: 7E604530
	s_nop 1                                                    // 000000003D90: BF800001
	v_mul_f32_e32 v48, 0x42fe0000, v48                         // 000000003D94: 0A6060FF 42FE0000
	v_mul_f32_e32 v88, v48, v128                               // 000000003D9C: 0AB10130
	v_mul_f32_e32 v89, v48, v129                               // 000000003DA0: 0AB30330
	v_mul_f32_e32 v90, v48, v130                               // 000000003DA4: 0AB50530
	v_mul_f32_e32 v91, v48, v131                               // 000000003DA8: 0AB70730
	v_mul_f32_e32 v92, v48, v18                                // 000000003DAC: 0AB82530
	v_mul_f32_e32 v93, v48, v19                                // 000000003DB0: 0ABA2730
	v_mul_f32_e32 v94, v48, v20                                // 000000003DB4: 0ABC2930
	v_mul_f32_e32 v95, v48, v21                                // 000000003DB8: 0ABE2B30
	v_cvt_i32_f32_e32 v88, v88                                 // 000000003DBC: 7EB01158
	v_cvt_i32_f32_e32 v89, v89                                 // 000000003DC0: 7EB21159
	v_cvt_i32_f32_e32 v90, v90                                 // 000000003DC4: 7EB4115A
	v_cvt_i32_f32_e32 v91, v91                                 // 000000003DC8: 7EB6115B
	v_cvt_i32_f32_e32 v92, v92                                 // 000000003DCC: 7EB8115C
	v_cvt_i32_f32_e32 v93, v93                                 // 000000003DD0: 7EBA115D
	v_cvt_i32_f32_e32 v94, v94                                 // 000000003DD4: 7EBC115E
	v_cvt_i32_f32_e32 v95, v95                                 // 000000003DD8: 7EBE115F
	v_perm_b32 v88, v89, v88, s53                              // 000000003DDC: D1ED0058 00D6B159
	v_perm_b32 v88, v90, v88, s54                              // 000000003DE4: D1ED0058 00DAB15A
	v_perm_b32 v88, v91, v88, s55                              // 000000003DEC: D1ED0058 00DEB15B
	v_perm_b32 v89, v93, v92, s53                              // 000000003DF4: D1ED0059 00D6B95D
	v_perm_b32 v89, v94, v89, s54                              // 000000003DFC: D1ED0059 00DAB35E
	v_perm_b32 v89, v95, v89, s55                              // 000000003E04: D1ED0059 00DEB35F
	ds_write_b32 v13, v88 offset:6272                          // 000000003E0C: D81A1880 0000580D
	ds_write_b32 v13, v89 offset:7296                          // 000000003E14: D81A1C80 0000590D
	v_cvt_f32_i32_e32 v104, v104                               // 000000003E1C: 7ED00B68
	v_cvt_f32_i32_e32 v105, v105                               // 000000003E20: 7ED20B69
	v_cvt_f32_i32_e32 v106, v106                               // 000000003E24: 7ED40B6A
	v_cvt_f32_i32_e32 v107, v107                               // 000000003E28: 7ED60B6B
	v_mul_f32_e32 v104, v47, v104                              // 000000003E2C: 0AD0D12F
	v_mul_f32_e32 v105, v47, v105                              // 000000003E30: 0AD2D32F
	v_mul_f32_e32 v106, v47, v106                              // 000000003E34: 0AD4D52F
	v_mul_f32_e32 v107, v47, v107                              // 000000003E38: 0AD6D72F
	v_rcp_f32_e32 v47, v48                                     // 000000003E3C: 7E5E4530
	s_waitcnt lgkmcnt(0)                                       // 000000003E40: BF8CC07F
	s_barrier                                                  // 000000003E44: BF8A0000
	ds_read_b64 v[88:89], v12 offset:6272                      // 000000003E48: D8EC1880 5800000C
	ds_read_b64 v[90:91], v12 offset:6400                      // 000000003E50: D8EC1900 5A00000C
	ds_read_b64 v[92:93], v12 offset:7296                      // 000000003E58: D8EC1C80 5C00000C
	ds_read_b64 v[94:95], v12 offset:7424                      // 000000003E60: D8EC1D00 5E00000C
	v_add_f32_e32 v112, v112, v104                             // 000000003E68: 02E0D170
	v_add_f32_e32 v113, v113, v105                             // 000000003E6C: 02E2D371
	v_add_f32_e32 v114, v114, v106                             // 000000003E70: 02E4D572
	v_add_f32_e32 v115, v115, v107                             // 000000003E74: 02E6D773
	s_waitcnt lgkmcnt(3)                                       // 000000003E78: BF8CC37F
	v_mov_b32_dpp v96, v88 row_shl:8 row_mask:0xf bank_mask:0xf bound_ctrl:1// 000000003E7C: 7EC002FA FF090858
	v_and_b32_e32 v88, v88, v9                                 // 000000003E84: 26B01358
	v_mov_b32_dpp v97, v89 row_shl:8 row_mask:0xf bank_mask:0xf bound_ctrl:1// 000000003E88: 7EC202FA FF090859
	v_and_b32_e32 v89, v89, v9                                 // 000000003E90: 26B21359
	s_waitcnt lgkmcnt(2)                                       // 000000003E94: BF8CC27F
	v_mov_b32_dpp v98, v90 row_shl:8 row_mask:0xf bank_mask:0xf bound_ctrl:1// 000000003E98: 7EC402FA FF09085A
	v_and_b32_e32 v90, v90, v9                                 // 000000003EA0: 26B4135A
	v_mov_b32_dpp v99, v91 row_shl:8 row_mask:0xf bank_mask:0xf bound_ctrl:1// 000000003EA4: 7EC602FA FF09085B
	v_and_b32_e32 v91, v91, v9                                 // 000000003EAC: 26B6135B
	s_waitcnt lgkmcnt(1)                                       // 000000003EB0: BF8CC17F
	v_mov_b32_dpp v100, v92 row_shl:8 row_mask:0xf bank_mask:0xf bound_ctrl:1// 000000003EB4: 7EC802FA FF09085C
	v_and_b32_e32 v92, v92, v9                                 // 000000003EBC: 26B8135C
	v_mov_b32_dpp v101, v93 row_shl:8 row_mask:0xf bank_mask:0xf bound_ctrl:1// 000000003EC0: 7ECA02FA FF09085D
	v_and_b32_e32 v93, v93, v9                                 // 000000003EC8: 26BA135D
	s_waitcnt lgkmcnt(0)                                       // 000000003ECC: BF8CC07F
	v_mov_b32_dpp v102, v94 row_shl:8 row_mask:0xf bank_mask:0xf bound_ctrl:1// 000000003ED0: 7ECC02FA FF09085E
	v_and_b32_e32 v94, v94, v9                                 // 000000003ED8: 26BC135E
	v_mov_b32_dpp v103, v95 row_shl:8 row_mask:0xf bank_mask:0xf bound_ctrl:1// 000000003EDC: 7ECE02FA FF09085F
	v_and_b32_e32 v95, v95, v9                                 // 000000003EE4: 26BE135F
	s_waitcnt vmcnt(15)                                        // 000000003EE8: BF8C0F7F
	v_mfma_i32_16x16x32_i8 v[104:107], a[96:97], v[88:89], 0   // 000000003EEC: D3D70068 0A02B160
	buffer_load_dwordx4 a[80:83], v30, s[20:23], 0 offen offset:1024// 000000003EF4: E05C1400 8085501E
	v_mfma_i32_16x16x32_i8 v[104:107], a[98:99], v[90:91], v[104:107]// 000000003EFC: D3D70068 0DA2B562
	v_mfma_i32_16x16x32_i8 v[104:107], a[100:101], v[92:93], v[104:107]// 000000003F04: D3D70068 0DA2B964
	v_mfma_i32_16x16x32_i8 v[104:107], a[102:103], v[94:95], v[104:107]// 000000003F0C: D3D70068 0DA2BD66
	v_mfma_i32_16x16x32_i8 v[104:107], a[104:105], v[96:97], v[104:107]// 000000003F14: D3D70068 0DA2C168
	buffer_load_dwordx4 a[84:87], v31, s[20:23], 0 offen offset:1024// 000000003F1C: E05C1400 8085541F
	v_mfma_i32_16x16x32_i8 v[104:107], a[106:107], v[98:99], v[104:107]// 000000003F24: D3D70068 0DA2C56A
	v_mfma_i32_16x16x32_i8 v[104:107], a[108:109], v[100:101], v[104:107]// 000000003F2C: D3D70068 0DA2C96C
	v_mfma_i32_16x16x32_i8 v[104:107], a[110:111], v[102:103], v[104:107]// 000000003F34: D3D70068 0DA2CD6E
	v_mfma_i32_16x16x32_i8 v[108:111], a[112:113], v[88:89], 0 // 000000003F3C: D3D7006C 0A02B170
	buffer_load_dwordx4 a[88:91], v32, s[20:23], 0 offen offset:1024// 000000003F44: E05C1400 80855820
	v_mfma_i32_16x16x32_i8 v[108:111], a[114:115], v[90:91], v[108:111]// 000000003F4C: D3D7006C 0DB2B572
	v_mfma_i32_16x16x32_i8 v[108:111], a[116:117], v[92:93], v[108:111]// 000000003F54: D3D7006C 0DB2B974
	v_mfma_i32_16x16x32_i8 v[108:111], a[118:119], v[94:95], v[108:111]// 000000003F5C: D3D7006C 0DB2BD76
	v_mfma_i32_16x16x32_i8 v[108:111], a[120:121], v[96:97], v[108:111]// 000000003F64: D3D7006C 0DB2C178
	buffer_load_dwordx4 a[92:95], v33, s[20:23], 0 offen offset:1024// 000000003F6C: E05C1400 80855C21
	v_mfma_i32_16x16x32_i8 v[108:111], a[122:123], v[98:99], v[108:111]// 000000003F74: D3D7006C 0DB2C57A
	v_mfma_i32_16x16x32_i8 v[108:111], a[124:125], v[100:101], v[108:111]// 000000003F7C: D3D7006C 0DB2C97C
	s_lshr_b32 s57, s70, 4                                     // 000000003F84: 8F398446
	s_add_u32 s57, 48, s57                                     // 000000003F88: 803939B0
	v_mfma_i32_16x16x32_i8 v[108:111], a[126:127], v[102:103], v[108:111]// 000000003F8C: D3D7006C 0DB2CD7E
	s_cmp_ge_u32 s57, s52                                      // 000000003F94: BF093439
	s_cselect_b32 s56, 0, s56                                  // 000000003F98: 85383880
	v_add_u32_e32 v1, s56, v1                                  // 000000003F9C: 68020238
	s_addk_i32 s70, 0x100                                      // 000000003FA0: B7460100
	s_cmp_lt_i32 s70, s71                                      // 000000003FA4: BF044746
	s_cbranch_scc0 label_05CF                                  // 000000003FA8: BF84FC19
	s_branch label_05D2                                        // 000000003FAC: BF82FC1B

0000000000003fb0 <label_09B7>:
	s_lshr_b32 s60, s71, 4                                     // 000000003FB0: 8F3C8447
	s_cmp_eq_i32 s60, s52                                      // 000000003FB4: BF00343C
	s_cbranch_scc1 label_0DA8                                  // 000000003FB8: BF8503EE
	s_lshr_b32 s60, s71, 8                                     // 000000003FBC: 8F3C8847
	s_and_b32 s60, s60, 1                                      // 000000003FC0: 863C813C
	s_cmp_eq_i32 s60, 1                                        // 000000003FC4: BF00813C
	s_cbranch_scc1 label_0BB3                                  // 000000003FC8: BF8501F5
	s_waitcnt vmcnt(8) lgkmcnt(0)                              // 000000003FCC: BF8C0078
	s_barrier                                                  // 000000003FD0: BF8A0000
	v_mfma_i32_16x16x32_i8 v[88:91], a[0:1], v[80:81], 0       // 000000003FD4: D3D70058 0A02A100
	v_mfma_i32_16x16x32_i8 v[88:91], a[2:3], v[82:83], v[88:91]// 000000003FDC: D3D70058 0D62A502
	v_mfma_i32_16x16x32_i8 v[88:91], a[4:5], v[84:85], v[88:91]// 000000003FE4: D3D70058 0D62A904
	v_mfma_i32_16x16x32_i8 v[88:91], a[6:7], v[86:87], v[88:91]// 000000003FEC: D3D70058 0D62AD06
	v_mfma_i32_16x16x32_i8 v[92:95], a[8:9], v[80:81], 0       // 000000003FF4: D3D7005C 0A02A108
	v_mfma_i32_16x16x32_i8 v[92:95], a[10:11], v[82:83], v[92:95]// 000000003FFC: D3D7005C 0D72A50A
	v_mfma_i32_16x16x32_i8 v[92:95], a[12:13], v[84:85], v[92:95]// 000000004004: D3D7005C 0D72A90C
	v_mfma_i32_16x16x32_i8 v[92:95], a[14:15], v[86:87], v[92:95]// 00000000400C: D3D7005C 0D72AD0E
	v_mfma_i32_16x16x32_i8 v[96:99], a[16:17], v[80:81], 0     // 000000004014: D3D70060 0A02A110
	v_mfma_i32_16x16x32_i8 v[96:99], a[18:19], v[82:83], v[96:99]// 00000000401C: D3D70060 0D82A512
	v_mfma_i32_16x16x32_i8 v[96:99], a[20:21], v[84:85], v[96:99]// 000000004024: D3D70060 0D82A914
	v_mfma_i32_16x16x32_i8 v[96:99], a[22:23], v[86:87], v[96:99]// 00000000402C: D3D70060 0D82AD16
	v_mfma_i32_16x16x32_i8 v[100:103], a[24:25], v[80:81], 0   // 000000004034: D3D70064 0A02A118
	v_mfma_i32_16x16x32_i8 v[100:103], a[26:27], v[82:83], v[100:103]// 00000000403C: D3D70064 0D92A51A
	v_mfma_i32_16x16x32_i8 v[100:103], a[28:29], v[84:85], v[100:103]// 000000004044: D3D70064 0D92A91C
	v_mfma_i32_16x16x32_i8 v[100:103], a[30:31], v[86:87], v[100:103]// 00000000404C: D3D70064 0D92AD1E
	v_mov_b32_dpp v38, v44 row_shr:4 row_mask:0xf bank_mask:0xf// 000000004054: 7E4C02FA FF01142C
	v_mov_b32_dpp v39, v44 row_shl:4 row_mask:0xf bank_mask:0xf// 00000000405C: 7E4E02FA FF01042C
	v_cndmask_b32_e64 v124, v44, v38, s[44:45]                 // 000000004064: D100007C 00B24D2C
	v_cndmask_b32_e64 v125, v39, v44, s[44:45]                 // 00000000406C: D100007D 00B25927
	v_mov_b32_dpp v38, v55 row_shr:4 row_mask:0xf bank_mask:0xf// 000000004074: 7E4C02FA FF011437
	v_mov_b32_dpp v39, v55 row_shl:4 row_mask:0xf bank_mask:0xf// 00000000407C: 7E4E02FA FF010437
	v_cndmask_b32_e64 v126, v55, v38, s[44:45]                 // 000000004084: D100007E 00B24D37
	v_cndmask_b32_e64 v127, v39, v55, s[44:45]                 // 00000000408C: D100007F 00B26F27
	v_or_b32_dpp v88, v96, v88 row_shr:8 row_mask:0xf bank_mask:0xf bound_ctrl:1// 000000004094: 28B0B0FA FF091860
	v_or_b32_dpp v89, v97, v89 row_shr:8 row_mask:0xf bank_mask:0xf bound_ctrl:1// 00000000409C: 28B2B2FA FF091861
	v_or_b32_dpp v90, v98, v90 row_shr:8 row_mask:0xf bank_mask:0xf bound_ctrl:1// 0000000040A4: 28B4B4FA FF091862
	v_or_b32_dpp v91, v99, v91 row_shr:8 row_mask:0xf bank_mask:0xf bound_ctrl:1// 0000000040AC: 28B6B6FA FF091863
	v_or_b32_dpp v92, v100, v92 row_shr:8 row_mask:0xf bank_mask:0xf bound_ctrl:1// 0000000040B4: 28B8B8FA FF091864
	v_or_b32_dpp v93, v101, v93 row_shr:8 row_mask:0xf bank_mask:0xf bound_ctrl:1// 0000000040BC: 28BABAFA FF091865
	v_or_b32_dpp v94, v102, v94 row_shr:8 row_mask:0xf bank_mask:0xf bound_ctrl:1// 0000000040C4: 28BCBCFA FF091866
	v_or_b32_dpp v95, v103, v95 row_shr:8 row_mask:0xf bank_mask:0xf bound_ctrl:1// 0000000040CC: 28BEBEFA FF091867
	v_cvt_f32_i32_e32 v88, v88                                 // 0000000040D4: 7EB00B58
	v_cvt_f32_i32_e32 v89, v89                                 // 0000000040D8: 7EB20B59
	v_cvt_f32_i32_e32 v90, v90                                 // 0000000040DC: 7EB40B5A
	v_cvt_f32_i32_e32 v91, v91                                 // 0000000040E0: 7EB60B5B
	v_cvt_f32_i32_e32 v92, v92                                 // 0000000040E4: 7EB80B5C
	v_cvt_f32_i32_e32 v93, v93                                 // 0000000040E8: 7EBA0B5D
	v_cvt_f32_i32_e32 v94, v94                                 // 0000000040EC: 7EBC0B5E
	v_cvt_f32_i32_e32 v95, v95                                 // 0000000040F0: 7EBE0B5F
	v_mul_f32_e32 v88, v46, v88                                // 0000000040F4: 0AB0B12E
	v_mul_f32_e32 v89, v46, v89                                // 0000000040F8: 0AB2B32E
	v_mul_f32_e32 v90, v46, v90                                // 0000000040FC: 0AB4B52E
	v_mul_f32_e32 v91, v46, v91                                // 000000004100: 0AB6B72E
	v_mul_f32_e32 v92, v46, v92                                // 000000004104: 0AB8B92E
	v_mul_f32_e32 v93, v46, v93                                // 000000004108: 0ABABB2E
	v_mul_f32_e32 v94, v46, v94                                // 00000000410C: 0ABCBD2E
	v_mul_f32_e32 v95, v46, v95                                // 000000004110: 0ABEBF2E
	v_mul_f32_dpp v88, v124, v88 quad_perm:[0,0,0,0] row_mask:0xf bank_mask:0xf// 000000004114: 0AB0B0FA FF00007C
	v_mul_f32_dpp v89, v124, v89 quad_perm:[1,1,1,1] row_mask:0xf bank_mask:0xf// 00000000411C: 0AB2B2FA FF00557C
	v_mul_f32_dpp v90, v124, v90 quad_perm:[2,2,2,2] row_mask:0xf bank_mask:0xf// 000000004124: 0AB4B4FA FF00AA7C
	v_mul_f32_dpp v91, v124, v91 quad_perm:[3,3,3,3] row_mask:0xf bank_mask:0xf// 00000000412C: 0AB6B6FA FF00FF7C
	v_mul_f32_dpp v92, v125, v92 quad_perm:[0,0,0,0] row_mask:0xf bank_mask:0xf// 000000004134: 0AB8B8FA FF00007D
	v_mul_f32_dpp v93, v125, v93 quad_perm:[1,1,1,1] row_mask:0xf bank_mask:0xf// 00000000413C: 0ABABAFA FF00557D
	v_mul_f32_dpp v94, v125, v94 quad_perm:[2,2,2,2] row_mask:0xf bank_mask:0xf// 000000004144: 0ABCBCFA FF00AA7D
	v_mul_f32_dpp v95, v125, v95 quad_perm:[3,3,3,3] row_mask:0xf bank_mask:0xf// 00000000414C: 0ABEBEFA FF00FF7D
	s_and_b32 s60, s72, 0xff                                   // 000000004154: 863CFF48 000000FF
	v_mov_b32_e32 v62, s60                                     // 00000000415C: 7E7C023C
	v_lshrrev_b32_e32 v116, 4, v0                              // 000000004160: 20E80084
	v_mul_i32_i24_e32 v116, 4, v116                            // 000000004164: 0CE8E884
	v_and_b32_e32 v38, 15, v0                                  // 000000004168: 264C008F
	v_lshrrev_b32_e32 v38, 3, v38                              // 00000000416C: 204C4C83
	v_mul_i32_i24_e32 v38, 0x80, v38                           // 000000004170: 0C4C4CFF 00000080
	v_add_u32_e32 v116, v38, v116                              // 000000004178: 68E8E926
	s_mul_i32 s60, s7, 16                                      // 00000000417C: 923C9007
	v_add_u32_e32 v116, s60, v116                              // 000000004180: 68E8E83C
	v_add_u32_e32 v117, 1, v116                                // 000000004184: 68EAE881
	v_add_u32_e32 v118, 2, v116                                // 000000004188: 68ECE882
	v_add_u32_e32 v119, 3, v116                                // 00000000418C: 68EEE883
	v_cmp_lt_u32_e64 s[40:41], v116, v62                       // 000000004190: D0C90028 00027D74
	v_add_u32_e32 v116, 64, v116                               // 000000004198: 68E8E8C0
	s_nop 0                                                    // 00000000419C: BF800000
	v_cndmask_b32_e64 v88, v52, v88, s[40:41]                  // 0000000041A0: D1000058 00A2B134
	v_cmp_lt_u32_e64 s[40:41], v117, v62                       // 0000000041A8: D0C90028 00027D75
	v_add_u32_e32 v117, 64, v117                               // 0000000041B0: 68EAEAC0
	s_nop 0                                                    // 0000000041B4: BF800000
	v_cndmask_b32_e64 v89, v52, v89, s[40:41]                  // 0000000041B8: D1000059 00A2B334
	v_cmp_lt_u32_e64 s[40:41], v118, v62                       // 0000000041C0: D0C90028 00027D76
	v_add_u32_e32 v118, 64, v118                               // 0000000041C8: 68ECECC0
	s_nop 0                                                    // 0000000041CC: BF800000
	v_cndmask_b32_e64 v90, v52, v90, s[40:41]                  // 0000000041D0: D100005A 00A2B534
	v_cmp_lt_u32_e64 s[40:41], v119, v62                       // 0000000041D8: D0C90028 00027D77
	v_add_u32_e32 v119, 64, v119                               // 0000000041E0: 68EEEEC0
	s_nop 0                                                    // 0000000041E4: BF800000
	v_cndmask_b32_e64 v91, v52, v91, s[40:41]                  // 0000000041E8: D100005B 00A2B734
	v_cmp_lt_u32_e64 s[40:41], v116, v62                       // 0000000041F0: D0C90028 00027D74
	v_add_u32_e32 v116, 64, v116                               // 0000000041F8: 68E8E8C0
	s_nop 0                                                    // 0000000041FC: BF800000
	v_cndmask_b32_e64 v92, v52, v92, s[40:41]                  // 000000004200: D100005C 00A2B934
	v_cmp_lt_u32_e64 s[40:41], v117, v62                       // 000000004208: D0C90028 00027D75
	v_add_u32_e32 v117, 64, v117                               // 000000004210: 68EAEAC0
	s_nop 0                                                    // 000000004214: BF800000
	v_cndmask_b32_e64 v93, v52, v93, s[40:41]                  // 000000004218: D100005D 00A2BB34
	v_cmp_lt_u32_e64 s[40:41], v118, v62                       // 000000004220: D0C90028 00027D76
	v_add_u32_e32 v118, 64, v118                               // 000000004228: 68ECECC0
	s_nop 0                                                    // 00000000422C: BF800000
	v_cndmask_b32_e64 v94, v52, v94, s[40:41]                  // 000000004230: D100005E 00A2BD34
	v_cmp_lt_u32_e64 s[40:41], v119, v62                       // 000000004238: D0C90028 00027D77
	v_add_u32_e32 v119, 64, v119                               // 000000004240: 68EEEEC0
	s_nop 0                                                    // 000000004244: BF800000
	v_cndmask_b32_e64 v95, v52, v95, s[40:41]                  // 000000004248: D100005F 00A2BF34
	v_mov_b32_e32 v48, v88                                     // 000000004250: 7E600358
	v_max3_f32 v48, v88, v89, v48                              // 000000004254: D1D30030 04C2B358
	v_max3_f32 v48, v90, v91, v48                              // 00000000425C: D1D30030 04C2B75A
	v_max3_f32 v48, v92, v93, v48                              // 000000004264: D1D30030 04C2BB5C
	v_max3_f32 v48, v94, v95, v48                              // 00000000426C: D1D30030 04C2BF5E
	ds_write_b32 v11, v48 offset:4224                          // 000000004274: D81A1080 0000300B
	v_mul_u32_u24_dpp v38, v17, v51 row_newbcast:1 row_mask:0xf bank_mask:0xf// 00000000427C: 104C66FA FF015111
	v_mul_u32_u24_dpp v39, v17, v51 row_newbcast:5 row_mask:0xf bank_mask:0xf// 000000004284: 104E66FA FF015511
	v_mul_u32_u24_dpp v40, v17, v51 row_newbcast:9 row_mask:0xf bank_mask:0xf// 00000000428C: 105066FA FF015911
	v_mul_u32_u24_dpp v41, v17, v51 row_newbcast:13 row_mask:0xf bank_mask:0xf// 000000004294: 105266FA FF015D11
	v_add_u32_e32 v34, v38, v7                                 // 00000000429C: 68440F26
	v_add_u32_e32 v35, v39, v7                                 // 0000000042A0: 68460F27
	v_add_u32_e32 v36, v40, v7                                 // 0000000042A4: 68480F28
	v_add_u32_e32 v37, v41, v7                                 // 0000000042A8: 684A0F29
	s_waitcnt lgkmcnt(0)                                       // 0000000042AC: BF8CC07F
	s_barrier                                                  // 0000000042B0: BF8A0000
	ds_read_b32 v64, v10 offset:4224                           // 0000000042B4: D86C1080 4000000A
	ds_read_b32 v65, v10 offset:4288                           // 0000000042BC: D86C10C0 4100000A
	ds_read_b32 v66, v10 offset:4352                           // 0000000042C4: D86C1100 4200000A
	ds_read_b32 v67, v10 offset:4416                           // 0000000042CC: D86C1140 4300000A
	ds_read_b32 v68, v10 offset:4480                           // 0000000042D4: D86C1180 4400000A
	ds_read_b32 v69, v10 offset:4544                           // 0000000042DC: D86C11C0 4500000A
	ds_read_b32 v70, v10 offset:4608                           // 0000000042E4: D86C1200 4600000A
	ds_read_b32 v71, v10 offset:4672                           // 0000000042EC: D86C1240 4700000A
	ds_read_b32 v72, v10 offset:4736                           // 0000000042F4: D86C1280 4800000A
	ds_read_b32 v73, v10 offset:4800                           // 0000000042FC: D86C12C0 4900000A
	ds_read_b32 v74, v10 offset:4864                           // 000000004304: D86C1300 4A00000A
	ds_read_b32 v75, v10 offset:4928                           // 00000000430C: D86C1340 4B00000A
	ds_read_b32 v76, v10 offset:4992                           // 000000004314: D86C1380 4C00000A
	ds_read_b32 v77, v10 offset:5056                           // 00000000431C: D86C13C0 4D00000A
	ds_read_b32 v78, v10 offset:5120                           // 000000004324: D86C1400 4E00000A
	ds_read_b32 v79, v10 offset:5184                           // 00000000432C: D86C1440 4F00000A
	v_mul_f32_e32 v112, v49, v112                              // 000000004334: 0AE0E131
	v_mul_f32_e32 v113, v49, v113                              // 000000004338: 0AE2E331
	v_mul_f32_e32 v114, v49, v114                              // 00000000433C: 0AE4E531
	v_mul_f32_e32 v115, v49, v115                              // 000000004340: 0AE6E731
	v_or_b32_dpp v104, v108, v104 row_shr:8 row_mask:0xf bank_mask:0xf bound_ctrl:1// 000000004344: 28D0D0FA FF09186C
	v_or_b32_dpp v105, v109, v105 row_shr:8 row_mask:0xf bank_mask:0xf bound_ctrl:1// 00000000434C: 28D2D2FA FF09186D
	v_or_b32_dpp v106, v110, v106 row_shr:8 row_mask:0xf bank_mask:0xf bound_ctrl:1// 000000004354: 28D4D4FA FF09186E
	v_or_b32_dpp v107, v111, v107 row_shr:8 row_mask:0xf bank_mask:0xf bound_ctrl:1// 00000000435C: 28D6D6FA FF09186F
	s_waitcnt lgkmcnt(0)                                       // 000000004364: BF8CC07F
	v_max3_f32 v48, v64, v65, v48                              // 000000004368: D1D30030 04C28340
	v_max3_f32 v48, v66, v67, v48                              // 000000004370: D1D30030 04C28742
	v_max3_f32 v48, v68, v69, v48                              // 000000004378: D1D30030 04C28B44
	v_max3_f32 v48, v70, v71, v48                              // 000000004380: D1D30030 04C28F46
	v_max3_f32 v48, v72, v73, v48                              // 000000004388: D1D30030 04C29348
	v_max3_f32 v48, v74, v75, v48                              // 000000004390: D1D30030 04C2974A
	v_max3_f32 v48, v76, v77, v48                              // 000000004398: D1D30030 04C29B4C
	v_max3_f32 v48, v78, v79, v48                              // 0000000043A0: D1D30030 04C29F4E
	v_cmp_eq_u32_e64 s[40:41], v52, v14                        // 0000000043A8: D0CA0028 00021D34
	s_nop 1                                                    // 0000000043B0: BF800001
	v_mov_b32_dpp v38, v48 row_ror:8 row_mask:0xf bank_mask:0xf// 0000000043B4: 7E4C02FA FF012830
	v_max_f32_e32 v48, v48, v38                                // 0000000043BC: 16604D30
	v_max_f32_e32 v15, v48, v14                                // 0000000043C0: 161E1D30
	v_mul_f32_e32 v50, s64, v15                                // 0000000043C4: 0A641E40
	v_fma_f32 v88, v88, s64, -v50                              // 0000000043C8: D1CB0058 84C88158
	v_fma_f32 v89, v89, s64, -v50                              // 0000000043D0: D1CB0059 84C88159
	v_fma_f32 v90, v90, s64, -v50                              // 0000000043D8: D1CB005A 84C8815A
	v_fma_f32 v91, v91, s64, -v50                              // 0000000043E0: D1CB005B 84C8815B
	v_fma_f32 v92, v92, s64, -v50                              // 0000000043E8: D1CB005C 84C8815C
	v_fma_f32 v93, v93, s64, -v50                              // 0000000043F0: D1CB005D 84C8815D
	v_fma_f32 v94, v94, s64, -v50                              // 0000000043F8: D1CB005E 84C8815E
	v_fma_f32 v95, v95, s64, -v50                              // 000000004400: D1CB005F 84C8815F
	v_exp_f32_e32 v88, v88                                     // 000000004408: 7EB04158
	v_exp_f32_e32 v89, v89                                     // 00000000440C: 7EB24159
	v_exp_f32_e32 v90, v90                                     // 000000004410: 7EB4415A
	v_exp_f32_e32 v91, v91                                     // 000000004414: 7EB6415B
	v_exp_f32_e32 v92, v92                                     // 000000004418: 7EB8415C
	v_exp_f32_e32 v93, v93                                     // 00000000441C: 7EBA415D
	v_exp_f32_e32 v94, v94                                     // 000000004420: 7EBC415E
	v_exp_f32_e32 v95, v95                                     // 000000004424: 7EBE415F
	v_mul_f32_dpp v128, v126, v88 quad_perm:[0,0,0,0] row_mask:0xf bank_mask:0xf// 000000004428: 0B00B0FA FF00007E
	v_mul_f32_dpp v129, v126, v89 quad_perm:[1,1,1,1] row_mask:0xf bank_mask:0xf// 000000004430: 0B02B2FA FF00557E
	v_mul_f32_dpp v130, v126, v90 quad_perm:[2,2,2,2] row_mask:0xf bank_mask:0xf// 000000004438: 0B04B4FA FF00AA7E
	v_mul_f32_dpp v131, v126, v91 quad_perm:[3,3,3,3] row_mask:0xf bank_mask:0xf// 000000004440: 0B06B6FA FF00FF7E
	v_mul_f32_dpp v18, v127, v92 quad_perm:[0,0,0,0] row_mask:0xf bank_mask:0xf// 000000004448: 0A24B8FA FF00007F
	v_mul_f32_dpp v19, v127, v93 quad_perm:[1,1,1,1] row_mask:0xf bank_mask:0xf// 000000004450: 0A26BAFA FF00557F
	v_mul_f32_dpp v20, v127, v94 quad_perm:[2,2,2,2] row_mask:0xf bank_mask:0xf// 000000004458: 0A28BCFA FF00AA7F
	v_mul_f32_dpp v21, v127, v95 quad_perm:[3,3,3,3] row_mask:0xf bank_mask:0xf// 000000004460: 0A2ABEFA FF00FF7F
	v_mov_b32_e32 v48, 0x358637bd                              // 000000004468: 7E6002FF 358637BD
	v_max3_f32 v48, |v128|, |v129|, v48                        // 000000004470: D1D30330 04C30380
	v_max3_f32 v48, |v130|, |v131|, v48                        // 000000004478: D1D30330 04C30782
	v_max3_f32 v48, |v18|, |v19|, v48                          // 000000004480: D1D30330 04C22712
	v_max3_f32 v48, |v20|, |v21|, v48                          // 000000004488: D1D30330 04C22B14
	ds_write_b32 v11, v48 offset:5248                          // 000000004490: D81A1480 0000300B
	v_sub_f32_e32 v49, v14, v15                                // 000000004498: 04621F0E
	v_cndmask_b32_e64 v49, v49, 0, s[40:41]                    // 00000000449C: D1000031 00A10131
	v_mov_b32_e32 v14, v15                                     // 0000000044A4: 7E1C030F
	v_mul_f32_e32 v49, s64, v49                                // 0000000044A8: 0A626240
	v_exp_f32_e32 v49, v49                                     // 0000000044AC: 7E624131
	s_waitcnt lgkmcnt(0)                                       // 0000000044B0: BF8CC07F
	s_barrier                                                  // 0000000044B4: BF8A0000
	ds_read_b32 v64, v10 offset:5248                           // 0000000044B8: D86C1480 4000000A
	ds_read_b32 v65, v10 offset:5312                           // 0000000044C0: D86C14C0 4100000A
	ds_read_b32 v66, v10 offset:5376                           // 0000000044C8: D86C1500 4200000A
	ds_read_b32 v67, v10 offset:5440                           // 0000000044D0: D86C1540 4300000A
	ds_read_b32 v68, v10 offset:5504                           // 0000000044D8: D86C1580 4400000A
	ds_read_b32 v69, v10 offset:5568                           // 0000000044E0: D86C15C0 4500000A
	ds_read_b32 v70, v10 offset:5632                           // 0000000044E8: D86C1600 4600000A
	ds_read_b32 v71, v10 offset:5696                           // 0000000044F0: D86C1640 4700000A
	ds_read_b32 v72, v10 offset:5760                           // 0000000044F8: D86C1680 4800000A
	ds_read_b32 v73, v10 offset:5824                           // 000000004500: D86C16C0 4900000A
	ds_read_b32 v74, v10 offset:5888                           // 000000004508: D86C1700 4A00000A
	ds_read_b32 v75, v10 offset:5952                           // 000000004510: D86C1740 4B00000A
	ds_read_b32 v76, v10 offset:6016                           // 000000004518: D86C1780 4C00000A
	ds_read_b32 v77, v10 offset:6080                           // 000000004520: D86C17C0 4D00000A
	ds_read_b32 v78, v10 offset:6144                           // 000000004528: D86C1800 4E00000A
	ds_read_b32 v79, v10 offset:6208                           // 000000004530: D86C1840 4F00000A
	v_mul_f32_e32 v42, v49, v42                                // 000000004538: 0A545531
	v_mov_b32_e32 v43, v88                                     // 00000000453C: 7E560358
	v_add_f32_e32 v43, v89, v43                                // 000000004540: 02565759
	v_add_f32_e32 v43, v90, v43                                // 000000004544: 0256575A
	v_add_f32_e32 v43, v91, v43                                // 000000004548: 0256575B
	v_add_f32_e32 v43, v92, v43                                // 00000000454C: 0256575C
	v_add_f32_e32 v43, v93, v43                                // 000000004550: 0256575D
	v_add_f32_e32 v43, v94, v43                                // 000000004554: 0256575E
	v_add_f32_e32 v43, v95, v43                                // 000000004558: 0256575F
	v_add_f32_e32 v42, v43, v42                                // 00000000455C: 0254552B
	s_waitcnt lgkmcnt(0)                                       // 000000004560: BF8CC07F
	v_max3_f32 v48, |v64|, |v65|, v48                          // 000000004564: D1D30330 04C28340
	v_max3_f32 v48, |v66|, |v67|, v48                          // 00000000456C: D1D30330 04C28742
	v_max3_f32 v48, |v68|, |v69|, v48                          // 000000004574: D1D30330 04C28B44
	v_max3_f32 v48, |v70|, |v71|, v48                          // 00000000457C: D1D30330 04C28F46
	v_max3_f32 v48, |v72|, |v73|, v48                          // 000000004584: D1D30330 04C29348
	v_max3_f32 v48, |v74|, |v75|, v48                          // 00000000458C: D1D30330 04C2974A
	v_max3_f32 v48, |v76|, |v77|, v48                          // 000000004594: D1D30330 04C29B4C
	v_max3_f32 v48, |v78|, |v79|, v48                          // 00000000459C: D1D30330 04C29F4E
	s_nop 2                                                    // 0000000045A4: BF800002
	v_mov_b32_dpp v38, v48 row_ror:8 row_mask:0xf bank_mask:0xf// 0000000045A8: 7E4C02FA FF012830
	v_max_f32_e32 v48, v48, v38                                // 0000000045B0: 16604D30
	v_rcp_f32_e32 v48, v48                                     // 0000000045B4: 7E604530
	s_nop 1                                                    // 0000000045B8: BF800001
	v_mul_f32_e32 v48, 0x42fe0000, v48                         // 0000000045BC: 0A6060FF 42FE0000
	v_mul_f32_e32 v88, v48, v128                               // 0000000045C4: 0AB10130
	v_mul_f32_e32 v89, v48, v129                               // 0000000045C8: 0AB30330
	v_mul_f32_e32 v90, v48, v130                               // 0000000045CC: 0AB50530
	v_mul_f32_e32 v91, v48, v131                               // 0000000045D0: 0AB70730
	v_mul_f32_e32 v92, v48, v18                                // 0000000045D4: 0AB82530
	v_mul_f32_e32 v93, v48, v19                                // 0000000045D8: 0ABA2730
	v_mul_f32_e32 v94, v48, v20                                // 0000000045DC: 0ABC2930
	v_mul_f32_e32 v95, v48, v21                                // 0000000045E0: 0ABE2B30
	v_cvt_i32_f32_e32 v88, v88                                 // 0000000045E4: 7EB01158
	v_cvt_i32_f32_e32 v89, v89                                 // 0000000045E8: 7EB21159
	v_cvt_i32_f32_e32 v90, v90                                 // 0000000045EC: 7EB4115A
	v_cvt_i32_f32_e32 v91, v91                                 // 0000000045F0: 7EB6115B
	v_cvt_i32_f32_e32 v92, v92                                 // 0000000045F4: 7EB8115C
	v_cvt_i32_f32_e32 v93, v93                                 // 0000000045F8: 7EBA115D
	v_cvt_i32_f32_e32 v94, v94                                 // 0000000045FC: 7EBC115E
	v_cvt_i32_f32_e32 v95, v95                                 // 000000004600: 7EBE115F
	v_perm_b32 v88, v89, v88, s53                              // 000000004604: D1ED0058 00D6B159
	v_perm_b32 v88, v90, v88, s54                              // 00000000460C: D1ED0058 00DAB15A
	v_perm_b32 v88, v91, v88, s55                              // 000000004614: D1ED0058 00DEB15B
	v_perm_b32 v89, v93, v92, s53                              // 00000000461C: D1ED0059 00D6B95D
	v_perm_b32 v89, v94, v89, s54                              // 000000004624: D1ED0059 00DAB35E
	v_perm_b32 v89, v95, v89, s55                              // 00000000462C: D1ED0059 00DEB35F
	ds_write_b32 v13, v88 offset:6272                          // 000000004634: D81A1880 0000580D
	ds_write_b32 v13, v89 offset:7296                          // 00000000463C: D81A1C80 0000590D
	v_cvt_f32_i32_e32 v104, v104                               // 000000004644: 7ED00B68
	v_cvt_f32_i32_e32 v105, v105                               // 000000004648: 7ED20B69
	v_cvt_f32_i32_e32 v106, v106                               // 00000000464C: 7ED40B6A
	v_cvt_f32_i32_e32 v107, v107                               // 000000004650: 7ED60B6B
	v_mul_f32_e32 v104, v47, v104                              // 000000004654: 0AD0D12F
	v_mul_f32_e32 v105, v47, v105                              // 000000004658: 0AD2D32F
	v_mul_f32_e32 v106, v47, v106                              // 00000000465C: 0AD4D52F
	v_mul_f32_e32 v107, v47, v107                              // 000000004660: 0AD6D72F
	v_rcp_f32_e32 v47, v48                                     // 000000004664: 7E5E4530
	s_waitcnt lgkmcnt(0)                                       // 000000004668: BF8CC07F
	s_barrier                                                  // 00000000466C: BF8A0000
	ds_read_b64 v[88:89], v12 offset:6272                      // 000000004670: D8EC1880 5800000C
	ds_read_b64 v[90:91], v12 offset:6400                      // 000000004678: D8EC1900 5A00000C
	ds_read_b64 v[92:93], v12 offset:7296                      // 000000004680: D8EC1C80 5C00000C
	ds_read_b64 v[94:95], v12 offset:7424                      // 000000004688: D8EC1D00 5E00000C
	v_add_f32_e32 v112, v112, v104                             // 000000004690: 02E0D170
	v_add_f32_e32 v113, v113, v105                             // 000000004694: 02E2D371
	v_add_f32_e32 v114, v114, v106                             // 000000004698: 02E4D572
	v_add_f32_e32 v115, v115, v107                             // 00000000469C: 02E6D773
	s_waitcnt lgkmcnt(3)                                       // 0000000046A0: BF8CC37F
	v_mov_b32_dpp v96, v88 row_shl:8 row_mask:0xf bank_mask:0xf bound_ctrl:1// 0000000046A4: 7EC002FA FF090858
	v_and_b32_e32 v88, v88, v9                                 // 0000000046AC: 26B01358
	v_mov_b32_dpp v97, v89 row_shl:8 row_mask:0xf bank_mask:0xf bound_ctrl:1// 0000000046B0: 7EC202FA FF090859
	v_and_b32_e32 v89, v89, v9                                 // 0000000046B8: 26B21359
	s_waitcnt lgkmcnt(2)                                       // 0000000046BC: BF8CC27F
	v_mov_b32_dpp v98, v90 row_shl:8 row_mask:0xf bank_mask:0xf bound_ctrl:1// 0000000046C0: 7EC402FA FF09085A
	v_and_b32_e32 v90, v90, v9                                 // 0000000046C8: 26B4135A
	v_mov_b32_dpp v99, v91 row_shl:8 row_mask:0xf bank_mask:0xf bound_ctrl:1// 0000000046CC: 7EC602FA FF09085B
	v_and_b32_e32 v91, v91, v9                                 // 0000000046D4: 26B6135B
	s_waitcnt lgkmcnt(1)                                       // 0000000046D8: BF8CC17F
	v_mov_b32_dpp v100, v92 row_shl:8 row_mask:0xf bank_mask:0xf bound_ctrl:1// 0000000046DC: 7EC802FA FF09085C
	v_and_b32_e32 v92, v92, v9                                 // 0000000046E4: 26B8135C
	v_mov_b32_dpp v101, v93 row_shl:8 row_mask:0xf bank_mask:0xf bound_ctrl:1// 0000000046E8: 7ECA02FA FF09085D
	v_and_b32_e32 v93, v93, v9                                 // 0000000046F0: 26BA135D
	s_waitcnt lgkmcnt(0)                                       // 0000000046F4: BF8CC07F
	v_mov_b32_dpp v102, v94 row_shl:8 row_mask:0xf bank_mask:0xf bound_ctrl:1// 0000000046F8: 7ECC02FA FF09085E
	v_and_b32_e32 v94, v94, v9                                 // 000000004700: 26BC135E
	v_mov_b32_dpp v103, v95 row_shl:8 row_mask:0xf bank_mask:0xf bound_ctrl:1// 000000004704: 7ECE02FA FF09085F
	v_and_b32_e32 v95, v95, v9                                 // 00000000470C: 26BE135F
	s_waitcnt vmcnt(0)                                         // 000000004710: BF8C0F70
	s_barrier                                                  // 000000004714: BF8A0000
	v_mfma_i32_16x16x32_i8 v[104:107], a[64:65], v[88:89], 0   // 000000004718: D3D70068 0A02B140
	v_mfma_i32_16x16x32_i8 v[104:107], a[66:67], v[90:91], v[104:107]// 000000004720: D3D70068 0DA2B542
	v_mfma_i32_16x16x32_i8 v[104:107], a[68:69], v[92:93], v[104:107]// 000000004728: D3D70068 0DA2B944
	v_mfma_i32_16x16x32_i8 v[104:107], a[70:71], v[94:95], v[104:107]// 000000004730: D3D70068 0DA2BD46
	v_mfma_i32_16x16x32_i8 v[104:107], a[72:73], v[96:97], v[104:107]// 000000004738: D3D70068 0DA2C148
	v_mfma_i32_16x16x32_i8 v[104:107], a[74:75], v[98:99], v[104:107]// 000000004740: D3D70068 0DA2C54A
	v_mfma_i32_16x16x32_i8 v[104:107], a[76:77], v[100:101], v[104:107]// 000000004748: D3D70068 0DA2C94C
	v_mfma_i32_16x16x32_i8 v[104:107], a[78:79], v[102:103], v[104:107]// 000000004750: D3D70068 0DA2CD4E
	v_mfma_i32_16x16x32_i8 v[108:111], a[80:81], v[88:89], 0   // 000000004758: D3D7006C 0A02B150
	v_mfma_i32_16x16x32_i8 v[108:111], a[82:83], v[90:91], v[108:111]// 000000004760: D3D7006C 0DB2B552
	v_mfma_i32_16x16x32_i8 v[108:111], a[84:85], v[92:93], v[108:111]// 000000004768: D3D7006C 0DB2B954
	v_mfma_i32_16x16x32_i8 v[108:111], a[86:87], v[94:95], v[108:111]// 000000004770: D3D7006C 0DB2BD56
	v_mfma_i32_16x16x32_i8 v[108:111], a[88:89], v[96:97], v[108:111]// 000000004778: D3D7006C 0DB2C158
	v_mfma_i32_16x16x32_i8 v[108:111], a[90:91], v[98:99], v[108:111]// 000000004780: D3D7006C 0DB2C55A
	v_mfma_i32_16x16x32_i8 v[108:111], a[92:93], v[100:101], v[108:111]// 000000004788: D3D7006C 0DB2C95C
	v_mfma_i32_16x16x32_i8 v[108:111], a[94:95], v[102:103], v[108:111]// 000000004790: D3D7006C 0DB2CD5E
	s_nop 4                                                    // 000000004798: BF800004
	s_branch label_0DA8                                        // 00000000479C: BF8201F5

00000000000047a0 <label_0BB3>:
	s_waitcnt vmcnt(8) lgkmcnt(0)                              // 0000000047A0: BF8C0078
	s_barrier                                                  // 0000000047A4: BF8A0000
	v_mfma_i32_16x16x32_i8 v[88:91], a[32:33], v[80:81], 0     // 0000000047A8: D3D70058 0A02A120
	v_mfma_i32_16x16x32_i8 v[88:91], a[34:35], v[82:83], v[88:91]// 0000000047B0: D3D70058 0D62A522
	v_mfma_i32_16x16x32_i8 v[88:91], a[36:37], v[84:85], v[88:91]// 0000000047B8: D3D70058 0D62A924
	v_mfma_i32_16x16x32_i8 v[88:91], a[38:39], v[86:87], v[88:91]// 0000000047C0: D3D70058 0D62AD26
	v_mfma_i32_16x16x32_i8 v[92:95], a[40:41], v[80:81], 0     // 0000000047C8: D3D7005C 0A02A128
	v_mfma_i32_16x16x32_i8 v[92:95], a[42:43], v[82:83], v[92:95]// 0000000047D0: D3D7005C 0D72A52A
	v_mfma_i32_16x16x32_i8 v[92:95], a[44:45], v[84:85], v[92:95]// 0000000047D8: D3D7005C 0D72A92C
	v_mfma_i32_16x16x32_i8 v[92:95], a[46:47], v[86:87], v[92:95]// 0000000047E0: D3D7005C 0D72AD2E
	v_mfma_i32_16x16x32_i8 v[96:99], a[48:49], v[80:81], 0     // 0000000047E8: D3D70060 0A02A130
	v_mfma_i32_16x16x32_i8 v[96:99], a[50:51], v[82:83], v[96:99]// 0000000047F0: D3D70060 0D82A532
	v_mfma_i32_16x16x32_i8 v[96:99], a[52:53], v[84:85], v[96:99]// 0000000047F8: D3D70060 0D82A934
	v_mfma_i32_16x16x32_i8 v[96:99], a[54:55], v[86:87], v[96:99]// 000000004800: D3D70060 0D82AD36
	v_mfma_i32_16x16x32_i8 v[100:103], a[56:57], v[80:81], 0   // 000000004808: D3D70064 0A02A138
	v_mfma_i32_16x16x32_i8 v[100:103], a[58:59], v[82:83], v[100:103]// 000000004810: D3D70064 0D92A53A
	v_mfma_i32_16x16x32_i8 v[100:103], a[60:61], v[84:85], v[100:103]// 000000004818: D3D70064 0D92A93C
	v_mfma_i32_16x16x32_i8 v[100:103], a[62:63], v[86:87], v[100:103]// 000000004820: D3D70064 0D92AD3E
	v_mov_b32_dpp v38, v45 row_shr:4 row_mask:0xf bank_mask:0xf// 000000004828: 7E4C02FA FF01142D
	v_mov_b32_dpp v39, v45 row_shl:4 row_mask:0xf bank_mask:0xf// 000000004830: 7E4E02FA FF01042D
	v_cndmask_b32_e64 v124, v45, v38, s[44:45]                 // 000000004838: D100007C 00B24D2D
	v_cndmask_b32_e64 v125, v39, v45, s[44:45]                 // 000000004840: D100007D 00B25B27
	v_mov_b32_dpp v38, v56 row_shr:4 row_mask:0xf bank_mask:0xf// 000000004848: 7E4C02FA FF011438
	v_mov_b32_dpp v39, v56 row_shl:4 row_mask:0xf bank_mask:0xf// 000000004850: 7E4E02FA FF010438
	v_cndmask_b32_e64 v126, v56, v38, s[44:45]                 // 000000004858: D100007E 00B24D38
	v_cndmask_b32_e64 v127, v39, v56, s[44:45]                 // 000000004860: D100007F 00B27127
	v_or_b32_dpp v88, v96, v88 row_shr:8 row_mask:0xf bank_mask:0xf bound_ctrl:1// 000000004868: 28B0B0FA FF091860
	v_or_b32_dpp v89, v97, v89 row_shr:8 row_mask:0xf bank_mask:0xf bound_ctrl:1// 000000004870: 28B2B2FA FF091861
	v_or_b32_dpp v90, v98, v90 row_shr:8 row_mask:0xf bank_mask:0xf bound_ctrl:1// 000000004878: 28B4B4FA FF091862
	v_or_b32_dpp v91, v99, v91 row_shr:8 row_mask:0xf bank_mask:0xf bound_ctrl:1// 000000004880: 28B6B6FA FF091863
	v_or_b32_dpp v92, v100, v92 row_shr:8 row_mask:0xf bank_mask:0xf bound_ctrl:1// 000000004888: 28B8B8FA FF091864
	v_or_b32_dpp v93, v101, v93 row_shr:8 row_mask:0xf bank_mask:0xf bound_ctrl:1// 000000004890: 28BABAFA FF091865
	v_or_b32_dpp v94, v102, v94 row_shr:8 row_mask:0xf bank_mask:0xf bound_ctrl:1// 000000004898: 28BCBCFA FF091866
	v_or_b32_dpp v95, v103, v95 row_shr:8 row_mask:0xf bank_mask:0xf bound_ctrl:1// 0000000048A0: 28BEBEFA FF091867
	v_cvt_f32_i32_e32 v88, v88                                 // 0000000048A8: 7EB00B58
	v_cvt_f32_i32_e32 v89, v89                                 // 0000000048AC: 7EB20B59
	v_cvt_f32_i32_e32 v90, v90                                 // 0000000048B0: 7EB40B5A
	v_cvt_f32_i32_e32 v91, v91                                 // 0000000048B4: 7EB60B5B
	v_cvt_f32_i32_e32 v92, v92                                 // 0000000048B8: 7EB80B5C
	v_cvt_f32_i32_e32 v93, v93                                 // 0000000048BC: 7EBA0B5D
	v_cvt_f32_i32_e32 v94, v94                                 // 0000000048C0: 7EBC0B5E
	v_cvt_f32_i32_e32 v95, v95                                 // 0000000048C4: 7EBE0B5F
	v_mul_f32_e32 v88, v46, v88                                // 0000000048C8: 0AB0B12E
	v_mul_f32_e32 v89, v46, v89                                // 0000000048CC: 0AB2B32E
	v_mul_f32_e32 v90, v46, v90                                // 0000000048D0: 0AB4B52E
	v_mul_f32_e32 v91, v46, v91                                // 0000000048D4: 0AB6B72E
	v_mul_f32_e32 v92, v46, v92                                // 0000000048D8: 0AB8B92E
	v_mul_f32_e32 v93, v46, v93                                // 0000000048DC: 0ABABB2E
	v_mul_f32_e32 v94, v46, v94                                // 0000000048E0: 0ABCBD2E
	v_mul_f32_e32 v95, v46, v95                                // 0000000048E4: 0ABEBF2E
	v_mul_f32_dpp v88, v124, v88 quad_perm:[0,0,0,0] row_mask:0xf bank_mask:0xf// 0000000048E8: 0AB0B0FA FF00007C
	v_mul_f32_dpp v89, v124, v89 quad_perm:[1,1,1,1] row_mask:0xf bank_mask:0xf// 0000000048F0: 0AB2B2FA FF00557C
	v_mul_f32_dpp v90, v124, v90 quad_perm:[2,2,2,2] row_mask:0xf bank_mask:0xf// 0000000048F8: 0AB4B4FA FF00AA7C
	v_mul_f32_dpp v91, v124, v91 quad_perm:[3,3,3,3] row_mask:0xf bank_mask:0xf// 000000004900: 0AB6B6FA FF00FF7C
	v_mul_f32_dpp v92, v125, v92 quad_perm:[0,0,0,0] row_mask:0xf bank_mask:0xf// 000000004908: 0AB8B8FA FF00007D
	v_mul_f32_dpp v93, v125, v93 quad_perm:[1,1,1,1] row_mask:0xf bank_mask:0xf// 000000004910: 0ABABAFA FF00557D
	v_mul_f32_dpp v94, v125, v94 quad_perm:[2,2,2,2] row_mask:0xf bank_mask:0xf// 000000004918: 0ABCBCFA FF00AA7D
	v_mul_f32_dpp v95, v125, v95 quad_perm:[3,3,3,3] row_mask:0xf bank_mask:0xf// 000000004920: 0ABEBEFA FF00FF7D
	s_and_b32 s60, s72, 0xff                                   // 000000004928: 863CFF48 000000FF
	v_mov_b32_e32 v62, s60                                     // 000000004930: 7E7C023C
	v_lshrrev_b32_e32 v116, 4, v0                              // 000000004934: 20E80084
	v_mul_i32_i24_e32 v116, 4, v116                            // 000000004938: 0CE8E884
	v_and_b32_e32 v38, 15, v0                                  // 00000000493C: 264C008F
	v_lshrrev_b32_e32 v38, 3, v38                              // 000000004940: 204C4C83
	v_mul_i32_i24_e32 v38, 0x80, v38                           // 000000004944: 0C4C4CFF 00000080
	v_add_u32_e32 v116, v38, v116                              // 00000000494C: 68E8E926
	s_mul_i32 s60, s7, 16                                      // 000000004950: 923C9007
	v_add_u32_e32 v116, s60, v116                              // 000000004954: 68E8E83C
	v_add_u32_e32 v117, 1, v116                                // 000000004958: 68EAE881
	v_add_u32_e32 v118, 2, v116                                // 00000000495C: 68ECE882
	v_add_u32_e32 v119, 3, v116                                // 000000004960: 68EEE883
	v_cmp_lt_u32_e64 s[40:41], v116, v62                       // 000000004964: D0C90028 00027D74
	v_add_u32_e32 v116, 64, v116                               // 00000000496C: 68E8E8C0
	s_nop 0                                                    // 000000004970: BF800000
	v_cndmask_b32_e64 v88, v52, v88, s[40:41]                  // 000000004974: D1000058 00A2B134
	v_cmp_lt_u32_e64 s[40:41], v117, v62                       // 00000000497C: D0C90028 00027D75
	v_add_u32_e32 v117, 64, v117                               // 000000004984: 68EAEAC0
	s_nop 0                                                    // 000000004988: BF800000
	v_cndmask_b32_e64 v89, v52, v89, s[40:41]                  // 00000000498C: D1000059 00A2B334
	v_cmp_lt_u32_e64 s[40:41], v118, v62                       // 000000004994: D0C90028 00027D76
	v_add_u32_e32 v118, 64, v118                               // 00000000499C: 68ECECC0
	s_nop 0                                                    // 0000000049A0: BF800000
	v_cndmask_b32_e64 v90, v52, v90, s[40:41]                  // 0000000049A4: D100005A 00A2B534
	v_cmp_lt_u32_e64 s[40:41], v119, v62                       // 0000000049AC: D0C90028 00027D77
	v_add_u32_e32 v119, 64, v119                               // 0000000049B4: 68EEEEC0
	s_nop 0                                                    // 0000000049B8: BF800000
	v_cndmask_b32_e64 v91, v52, v91, s[40:41]                  // 0000000049BC: D100005B 00A2B734
	v_cmp_lt_u32_e64 s[40:41], v116, v62                       // 0000000049C4: D0C90028 00027D74
	v_add_u32_e32 v116, 64, v116                               // 0000000049CC: 68E8E8C0
	s_nop 0                                                    // 0000000049D0: BF800000
	v_cndmask_b32_e64 v92, v52, v92, s[40:41]                  // 0000000049D4: D100005C 00A2B934
	v_cmp_lt_u32_e64 s[40:41], v117, v62                       // 0000000049DC: D0C90028 00027D75
	v_add_u32_e32 v117, 64, v117                               // 0000000049E4: 68EAEAC0
	s_nop 0                                                    // 0000000049E8: BF800000
	v_cndmask_b32_e64 v93, v52, v93, s[40:41]                  // 0000000049EC: D100005D 00A2BB34
	v_cmp_lt_u32_e64 s[40:41], v118, v62                       // 0000000049F4: D0C90028 00027D76
	v_add_u32_e32 v118, 64, v118                               // 0000000049FC: 68ECECC0
	s_nop 0                                                    // 000000004A00: BF800000
	v_cndmask_b32_e64 v94, v52, v94, s[40:41]                  // 000000004A04: D100005E 00A2BD34
	v_cmp_lt_u32_e64 s[40:41], v119, v62                       // 000000004A0C: D0C90028 00027D77
	v_add_u32_e32 v119, 64, v119                               // 000000004A14: 68EEEEC0
	s_nop 0                                                    // 000000004A18: BF800000
	v_cndmask_b32_e64 v95, v52, v95, s[40:41]                  // 000000004A1C: D100005F 00A2BF34
	v_mov_b32_e32 v48, v88                                     // 000000004A24: 7E600358
	v_max3_f32 v48, v88, v89, v48                              // 000000004A28: D1D30030 04C2B358
	v_max3_f32 v48, v90, v91, v48                              // 000000004A30: D1D30030 04C2B75A
	v_max3_f32 v48, v92, v93, v48                              // 000000004A38: D1D30030 04C2BB5C
	v_max3_f32 v48, v94, v95, v48                              // 000000004A40: D1D30030 04C2BF5E
	ds_write_b32 v11, v48 offset:4224                          // 000000004A48: D81A1080 0000300B
	v_mul_u32_u24_dpp v38, v16, v51 row_newbcast:1 row_mask:0xf bank_mask:0xf// 000000004A50: 104C66FA FF015110
	v_mul_u32_u24_dpp v39, v16, v51 row_newbcast:5 row_mask:0xf bank_mask:0xf// 000000004A58: 104E66FA FF015510
	v_mul_u32_u24_dpp v40, v16, v51 row_newbcast:9 row_mask:0xf bank_mask:0xf// 000000004A60: 105066FA FF015910
	v_mul_u32_u24_dpp v41, v16, v51 row_newbcast:13 row_mask:0xf bank_mask:0xf// 000000004A68: 105266FA FF015D10
	v_add_u32_e32 v30, v38, v7                                 // 000000004A70: 683C0F26
	v_add_u32_e32 v31, v39, v7                                 // 000000004A74: 683E0F27
	v_add_u32_e32 v32, v40, v7                                 // 000000004A78: 68400F28
	v_add_u32_e32 v33, v41, v7                                 // 000000004A7C: 68420F29
	s_waitcnt lgkmcnt(0)                                       // 000000004A80: BF8CC07F
	s_barrier                                                  // 000000004A84: BF8A0000
	ds_read_b32 v64, v10 offset:4224                           // 000000004A88: D86C1080 4000000A
	ds_read_b32 v65, v10 offset:4288                           // 000000004A90: D86C10C0 4100000A
	ds_read_b32 v66, v10 offset:4352                           // 000000004A98: D86C1100 4200000A
	ds_read_b32 v67, v10 offset:4416                           // 000000004AA0: D86C1140 4300000A
	ds_read_b32 v68, v10 offset:4480                           // 000000004AA8: D86C1180 4400000A
	ds_read_b32 v69, v10 offset:4544                           // 000000004AB0: D86C11C0 4500000A
	ds_read_b32 v70, v10 offset:4608                           // 000000004AB8: D86C1200 4600000A
	ds_read_b32 v71, v10 offset:4672                           // 000000004AC0: D86C1240 4700000A
	ds_read_b32 v72, v10 offset:4736                           // 000000004AC8: D86C1280 4800000A
	ds_read_b32 v73, v10 offset:4800                           // 000000004AD0: D86C12C0 4900000A
	ds_read_b32 v74, v10 offset:4864                           // 000000004AD8: D86C1300 4A00000A
	ds_read_b32 v75, v10 offset:4928                           // 000000004AE0: D86C1340 4B00000A
	ds_read_b32 v76, v10 offset:4992                           // 000000004AE8: D86C1380 4C00000A
	ds_read_b32 v77, v10 offset:5056                           // 000000004AF0: D86C13C0 4D00000A
	ds_read_b32 v78, v10 offset:5120                           // 000000004AF8: D86C1400 4E00000A
	ds_read_b32 v79, v10 offset:5184                           // 000000004B00: D86C1440 4F00000A
	v_mul_f32_e32 v112, v49, v112                              // 000000004B08: 0AE0E131
	v_mul_f32_e32 v113, v49, v113                              // 000000004B0C: 0AE2E331
	v_mul_f32_e32 v114, v49, v114                              // 000000004B10: 0AE4E531
	v_mul_f32_e32 v115, v49, v115                              // 000000004B14: 0AE6E731
	v_or_b32_dpp v104, v108, v104 row_shr:8 row_mask:0xf bank_mask:0xf bound_ctrl:1// 000000004B18: 28D0D0FA FF09186C
	v_or_b32_dpp v105, v109, v105 row_shr:8 row_mask:0xf bank_mask:0xf bound_ctrl:1// 000000004B20: 28D2D2FA FF09186D
	v_or_b32_dpp v106, v110, v106 row_shr:8 row_mask:0xf bank_mask:0xf bound_ctrl:1// 000000004B28: 28D4D4FA FF09186E
	v_or_b32_dpp v107, v111, v107 row_shr:8 row_mask:0xf bank_mask:0xf bound_ctrl:1// 000000004B30: 28D6D6FA FF09186F
	s_waitcnt lgkmcnt(0)                                       // 000000004B38: BF8CC07F
	v_max3_f32 v48, v64, v65, v48                              // 000000004B3C: D1D30030 04C28340
	v_max3_f32 v48, v66, v67, v48                              // 000000004B44: D1D30030 04C28742
	v_max3_f32 v48, v68, v69, v48                              // 000000004B4C: D1D30030 04C28B44
	v_max3_f32 v48, v70, v71, v48                              // 000000004B54: D1D30030 04C28F46
	v_max3_f32 v48, v72, v73, v48                              // 000000004B5C: D1D30030 04C29348
	v_max3_f32 v48, v74, v75, v48                              // 000000004B64: D1D30030 04C2974A
	v_max3_f32 v48, v76, v77, v48                              // 000000004B6C: D1D30030 04C29B4C
	v_max3_f32 v48, v78, v79, v48                              // 000000004B74: D1D30030 04C29F4E
	v_cmp_eq_u32_e64 s[40:41], v52, v14                        // 000000004B7C: D0CA0028 00021D34
	s_nop 1                                                    // 000000004B84: BF800001
	v_mov_b32_dpp v38, v48 row_ror:8 row_mask:0xf bank_mask:0xf// 000000004B88: 7E4C02FA FF012830
	v_max_f32_e32 v48, v48, v38                                // 000000004B90: 16604D30
	v_max_f32_e32 v15, v48, v14                                // 000000004B94: 161E1D30
	v_mul_f32_e32 v50, s64, v15                                // 000000004B98: 0A641E40
	v_fma_f32 v88, v88, s64, -v50                              // 000000004B9C: D1CB0058 84C88158
	v_fma_f32 v89, v89, s64, -v50                              // 000000004BA4: D1CB0059 84C88159
	v_fma_f32 v90, v90, s64, -v50                              // 000000004BAC: D1CB005A 84C8815A
	v_fma_f32 v91, v91, s64, -v50                              // 000000004BB4: D1CB005B 84C8815B
	v_fma_f32 v92, v92, s64, -v50                              // 000000004BBC: D1CB005C 84C8815C
	v_fma_f32 v93, v93, s64, -v50                              // 000000004BC4: D1CB005D 84C8815D
	v_fma_f32 v94, v94, s64, -v50                              // 000000004BCC: D1CB005E 84C8815E
	v_fma_f32 v95, v95, s64, -v50                              // 000000004BD4: D1CB005F 84C8815F
	v_exp_f32_e32 v88, v88                                     // 000000004BDC: 7EB04158
	v_exp_f32_e32 v89, v89                                     // 000000004BE0: 7EB24159
	v_exp_f32_e32 v90, v90                                     // 000000004BE4: 7EB4415A
	v_exp_f32_e32 v91, v91                                     // 000000004BE8: 7EB6415B
	v_exp_f32_e32 v92, v92                                     // 000000004BEC: 7EB8415C
	v_exp_f32_e32 v93, v93                                     // 000000004BF0: 7EBA415D
	v_exp_f32_e32 v94, v94                                     // 000000004BF4: 7EBC415E
	v_exp_f32_e32 v95, v95                                     // 000000004BF8: 7EBE415F
	v_mul_f32_dpp v128, v126, v88 quad_perm:[0,0,0,0] row_mask:0xf bank_mask:0xf// 000000004BFC: 0B00B0FA FF00007E
	v_mul_f32_dpp v129, v126, v89 quad_perm:[1,1,1,1] row_mask:0xf bank_mask:0xf// 000000004C04: 0B02B2FA FF00557E
	v_mul_f32_dpp v130, v126, v90 quad_perm:[2,2,2,2] row_mask:0xf bank_mask:0xf// 000000004C0C: 0B04B4FA FF00AA7E
	v_mul_f32_dpp v131, v126, v91 quad_perm:[3,3,3,3] row_mask:0xf bank_mask:0xf// 000000004C14: 0B06B6FA FF00FF7E
	v_mul_f32_dpp v18, v127, v92 quad_perm:[0,0,0,0] row_mask:0xf bank_mask:0xf// 000000004C1C: 0A24B8FA FF00007F
	v_mul_f32_dpp v19, v127, v93 quad_perm:[1,1,1,1] row_mask:0xf bank_mask:0xf// 000000004C24: 0A26BAFA FF00557F
	v_mul_f32_dpp v20, v127, v94 quad_perm:[2,2,2,2] row_mask:0xf bank_mask:0xf// 000000004C2C: 0A28BCFA FF00AA7F
	v_mul_f32_dpp v21, v127, v95 quad_perm:[3,3,3,3] row_mask:0xf bank_mask:0xf// 000000004C34: 0A2ABEFA FF00FF7F
	v_mov_b32_e32 v48, 0x358637bd                              // 000000004C3C: 7E6002FF 358637BD
	v_max3_f32 v48, |v128|, |v129|, v48                        // 000000004C44: D1D30330 04C30380
	v_max3_f32 v48, |v130|, |v131|, v48                        // 000000004C4C: D1D30330 04C30782
	v_max3_f32 v48, |v18|, |v19|, v48                          // 000000004C54: D1D30330 04C22712
	v_max3_f32 v48, |v20|, |v21|, v48                          // 000000004C5C: D1D30330 04C22B14
	ds_write_b32 v11, v48 offset:5248                          // 000000004C64: D81A1480 0000300B
	v_sub_f32_e32 v49, v14, v15                                // 000000004C6C: 04621F0E
	v_cndmask_b32_e64 v49, v49, 0, s[40:41]                    // 000000004C70: D1000031 00A10131
	v_mov_b32_e32 v14, v15                                     // 000000004C78: 7E1C030F
	v_mul_f32_e32 v49, s64, v49                                // 000000004C7C: 0A626240
	v_exp_f32_e32 v49, v49                                     // 000000004C80: 7E624131
	s_waitcnt lgkmcnt(0)                                       // 000000004C84: BF8CC07F
	s_barrier                                                  // 000000004C88: BF8A0000
	ds_read_b32 v64, v10 offset:5248                           // 000000004C8C: D86C1480 4000000A
	ds_read_b32 v65, v10 offset:5312                           // 000000004C94: D86C14C0 4100000A
	ds_read_b32 v66, v10 offset:5376                           // 000000004C9C: D86C1500 4200000A
	ds_read_b32 v67, v10 offset:5440                           // 000000004CA4: D86C1540 4300000A
	ds_read_b32 v68, v10 offset:5504                           // 000000004CAC: D86C1580 4400000A
	ds_read_b32 v69, v10 offset:5568                           // 000000004CB4: D86C15C0 4500000A
	ds_read_b32 v70, v10 offset:5632                           // 000000004CBC: D86C1600 4600000A
	ds_read_b32 v71, v10 offset:5696                           // 000000004CC4: D86C1640 4700000A
	ds_read_b32 v72, v10 offset:5760                           // 000000004CCC: D86C1680 4800000A
	ds_read_b32 v73, v10 offset:5824                           // 000000004CD4: D86C16C0 4900000A
	ds_read_b32 v74, v10 offset:5888                           // 000000004CDC: D86C1700 4A00000A
	ds_read_b32 v75, v10 offset:5952                           // 000000004CE4: D86C1740 4B00000A
	ds_read_b32 v76, v10 offset:6016                           // 000000004CEC: D86C1780 4C00000A
	ds_read_b32 v77, v10 offset:6080                           // 000000004CF4: D86C17C0 4D00000A
	ds_read_b32 v78, v10 offset:6144                           // 000000004CFC: D86C1800 4E00000A
	ds_read_b32 v79, v10 offset:6208                           // 000000004D04: D86C1840 4F00000A
	v_mul_f32_e32 v42, v49, v42                                // 000000004D0C: 0A545531
	v_mov_b32_e32 v43, v88                                     // 000000004D10: 7E560358
	v_add_f32_e32 v43, v89, v43                                // 000000004D14: 02565759
	v_add_f32_e32 v43, v90, v43                                // 000000004D18: 0256575A
	v_add_f32_e32 v43, v91, v43                                // 000000004D1C: 0256575B
	v_add_f32_e32 v43, v92, v43                                // 000000004D20: 0256575C
	v_add_f32_e32 v43, v93, v43                                // 000000004D24: 0256575D
	v_add_f32_e32 v43, v94, v43                                // 000000004D28: 0256575E
	v_add_f32_e32 v43, v95, v43                                // 000000004D2C: 0256575F
	v_add_f32_e32 v42, v43, v42                                // 000000004D30: 0254552B
	s_waitcnt lgkmcnt(0)                                       // 000000004D34: BF8CC07F
	v_max3_f32 v48, |v64|, |v65|, v48                          // 000000004D38: D1D30330 04C28340
	v_max3_f32 v48, |v66|, |v67|, v48                          // 000000004D40: D1D30330 04C28742
	v_max3_f32 v48, |v68|, |v69|, v48                          // 000000004D48: D1D30330 04C28B44
	v_max3_f32 v48, |v70|, |v71|, v48                          // 000000004D50: D1D30330 04C28F46
	v_max3_f32 v48, |v72|, |v73|, v48                          // 000000004D58: D1D30330 04C29348
	v_max3_f32 v48, |v74|, |v75|, v48                          // 000000004D60: D1D30330 04C2974A
	v_max3_f32 v48, |v76|, |v77|, v48                          // 000000004D68: D1D30330 04C29B4C
	v_max3_f32 v48, |v78|, |v79|, v48                          // 000000004D70: D1D30330 04C29F4E
	s_nop 2                                                    // 000000004D78: BF800002
	v_mov_b32_dpp v38, v48 row_ror:8 row_mask:0xf bank_mask:0xf// 000000004D7C: 7E4C02FA FF012830
	v_max_f32_e32 v48, v48, v38                                // 000000004D84: 16604D30
	v_rcp_f32_e32 v48, v48                                     // 000000004D88: 7E604530
	s_nop 1                                                    // 000000004D8C: BF800001
	v_mul_f32_e32 v48, 0x42fe0000, v48                         // 000000004D90: 0A6060FF 42FE0000
	v_mul_f32_e32 v88, v48, v128                               // 000000004D98: 0AB10130
	v_mul_f32_e32 v89, v48, v129                               // 000000004D9C: 0AB30330
	v_mul_f32_e32 v90, v48, v130                               // 000000004DA0: 0AB50530
	v_mul_f32_e32 v91, v48, v131                               // 000000004DA4: 0AB70730
	v_mul_f32_e32 v92, v48, v18                                // 000000004DA8: 0AB82530
	v_mul_f32_e32 v93, v48, v19                                // 000000004DAC: 0ABA2730
	v_mul_f32_e32 v94, v48, v20                                // 000000004DB0: 0ABC2930
	v_mul_f32_e32 v95, v48, v21                                // 000000004DB4: 0ABE2B30
	v_cvt_i32_f32_e32 v88, v88                                 // 000000004DB8: 7EB01158
	v_cvt_i32_f32_e32 v89, v89                                 // 000000004DBC: 7EB21159
	v_cvt_i32_f32_e32 v90, v90                                 // 000000004DC0: 7EB4115A
	v_cvt_i32_f32_e32 v91, v91                                 // 000000004DC4: 7EB6115B
	v_cvt_i32_f32_e32 v92, v92                                 // 000000004DC8: 7EB8115C
	v_cvt_i32_f32_e32 v93, v93                                 // 000000004DCC: 7EBA115D
	v_cvt_i32_f32_e32 v94, v94                                 // 000000004DD0: 7EBC115E
	v_cvt_i32_f32_e32 v95, v95                                 // 000000004DD4: 7EBE115F
	v_perm_b32 v88, v89, v88, s53                              // 000000004DD8: D1ED0058 00D6B159
	v_perm_b32 v88, v90, v88, s54                              // 000000004DE0: D1ED0058 00DAB15A
	v_perm_b32 v88, v91, v88, s55                              // 000000004DE8: D1ED0058 00DEB15B
	v_perm_b32 v89, v93, v92, s53                              // 000000004DF0: D1ED0059 00D6B95D
	v_perm_b32 v89, v94, v89, s54                              // 000000004DF8: D1ED0059 00DAB35E
	v_perm_b32 v89, v95, v89, s55                              // 000000004E00: D1ED0059 00DEB35F
	ds_write_b32 v13, v88 offset:6272                          // 000000004E08: D81A1880 0000580D
	ds_write_b32 v13, v89 offset:7296                          // 000000004E10: D81A1C80 0000590D
	v_cvt_f32_i32_e32 v104, v104                               // 000000004E18: 7ED00B68
	v_cvt_f32_i32_e32 v105, v105                               // 000000004E1C: 7ED20B69
	v_cvt_f32_i32_e32 v106, v106                               // 000000004E20: 7ED40B6A
	v_cvt_f32_i32_e32 v107, v107                               // 000000004E24: 7ED60B6B
	v_mul_f32_e32 v104, v47, v104                              // 000000004E28: 0AD0D12F
	v_mul_f32_e32 v105, v47, v105                              // 000000004E2C: 0AD2D32F
	v_mul_f32_e32 v106, v47, v106                              // 000000004E30: 0AD4D52F
	v_mul_f32_e32 v107, v47, v107                              // 000000004E34: 0AD6D72F
	v_rcp_f32_e32 v47, v48                                     // 000000004E38: 7E5E4530
	s_waitcnt lgkmcnt(0)                                       // 000000004E3C: BF8CC07F
	s_barrier                                                  // 000000004E40: BF8A0000
	ds_read_b64 v[88:89], v12 offset:6272                      // 000000004E44: D8EC1880 5800000C
	ds_read_b64 v[90:91], v12 offset:6400                      // 000000004E4C: D8EC1900 5A00000C
	ds_read_b64 v[92:93], v12 offset:7296                      // 000000004E54: D8EC1C80 5C00000C
	ds_read_b64 v[94:95], v12 offset:7424                      // 000000004E5C: D8EC1D00 5E00000C
	v_add_f32_e32 v112, v112, v104                             // 000000004E64: 02E0D170
	v_add_f32_e32 v113, v113, v105                             // 000000004E68: 02E2D371
	v_add_f32_e32 v114, v114, v106                             // 000000004E6C: 02E4D572
	v_add_f32_e32 v115, v115, v107                             // 000000004E70: 02E6D773
	s_waitcnt lgkmcnt(3)                                       // 000000004E74: BF8CC37F
	v_mov_b32_dpp v96, v88 row_shl:8 row_mask:0xf bank_mask:0xf bound_ctrl:1// 000000004E78: 7EC002FA FF090858
	v_and_b32_e32 v88, v88, v9                                 // 000000004E80: 26B01358
	v_mov_b32_dpp v97, v89 row_shl:8 row_mask:0xf bank_mask:0xf bound_ctrl:1// 000000004E84: 7EC202FA FF090859
	v_and_b32_e32 v89, v89, v9                                 // 000000004E8C: 26B21359
	s_waitcnt lgkmcnt(2)                                       // 000000004E90: BF8CC27F
	v_mov_b32_dpp v98, v90 row_shl:8 row_mask:0xf bank_mask:0xf bound_ctrl:1// 000000004E94: 7EC402FA FF09085A
	v_and_b32_e32 v90, v90, v9                                 // 000000004E9C: 26B4135A
	v_mov_b32_dpp v99, v91 row_shl:8 row_mask:0xf bank_mask:0xf bound_ctrl:1// 000000004EA0: 7EC602FA FF09085B
	v_and_b32_e32 v91, v91, v9                                 // 000000004EA8: 26B6135B
	s_waitcnt lgkmcnt(1)                                       // 000000004EAC: BF8CC17F
	v_mov_b32_dpp v100, v92 row_shl:8 row_mask:0xf bank_mask:0xf bound_ctrl:1// 000000004EB0: 7EC802FA FF09085C
	v_and_b32_e32 v92, v92, v9                                 // 000000004EB8: 26B8135C
	v_mov_b32_dpp v101, v93 row_shl:8 row_mask:0xf bank_mask:0xf bound_ctrl:1// 000000004EBC: 7ECA02FA FF09085D
	v_and_b32_e32 v93, v93, v9                                 // 000000004EC4: 26BA135D
	s_waitcnt lgkmcnt(0)                                       // 000000004EC8: BF8CC07F
	v_mov_b32_dpp v102, v94 row_shl:8 row_mask:0xf bank_mask:0xf bound_ctrl:1// 000000004ECC: 7ECC02FA FF09085E
	v_and_b32_e32 v94, v94, v9                                 // 000000004ED4: 26BC135E
	v_mov_b32_dpp v103, v95 row_shl:8 row_mask:0xf bank_mask:0xf bound_ctrl:1// 000000004ED8: 7ECE02FA FF09085F
	v_and_b32_e32 v95, v95, v9                                 // 000000004EE0: 26BE135F
	s_waitcnt vmcnt(0)                                         // 000000004EE4: BF8C0F70
	s_barrier                                                  // 000000004EE8: BF8A0000
	v_mfma_i32_16x16x32_i8 v[104:107], a[96:97], v[88:89], 0   // 000000004EEC: D3D70068 0A02B160
	v_mfma_i32_16x16x32_i8 v[104:107], a[98:99], v[90:91], v[104:107]// 000000004EF4: D3D70068 0DA2B562
	v_mfma_i32_16x16x32_i8 v[104:107], a[100:101], v[92:93], v[104:107]// 000000004EFC: D3D70068 0DA2B964
	v_mfma_i32_16x16x32_i8 v[104:107], a[102:103], v[94:95], v[104:107]// 000000004F04: D3D70068 0DA2BD66
	v_mfma_i32_16x16x32_i8 v[104:107], a[104:105], v[96:97], v[104:107]// 000000004F0C: D3D70068 0DA2C168
	v_mfma_i32_16x16x32_i8 v[104:107], a[106:107], v[98:99], v[104:107]// 000000004F14: D3D70068 0DA2C56A
	v_mfma_i32_16x16x32_i8 v[104:107], a[108:109], v[100:101], v[104:107]// 000000004F1C: D3D70068 0DA2C96C
	v_mfma_i32_16x16x32_i8 v[104:107], a[110:111], v[102:103], v[104:107]// 000000004F24: D3D70068 0DA2CD6E
	v_mfma_i32_16x16x32_i8 v[108:111], a[112:113], v[88:89], 0 // 000000004F2C: D3D7006C 0A02B170
	v_mfma_i32_16x16x32_i8 v[108:111], a[114:115], v[90:91], v[108:111]// 000000004F34: D3D7006C 0DB2B572
	v_mfma_i32_16x16x32_i8 v[108:111], a[116:117], v[92:93], v[108:111]// 000000004F3C: D3D7006C 0DB2B974
	v_mfma_i32_16x16x32_i8 v[108:111], a[118:119], v[94:95], v[108:111]// 000000004F44: D3D7006C 0DB2BD76
	v_mfma_i32_16x16x32_i8 v[108:111], a[120:121], v[96:97], v[108:111]// 000000004F4C: D3D7006C 0DB2C178
	v_mfma_i32_16x16x32_i8 v[108:111], a[122:123], v[98:99], v[108:111]// 000000004F54: D3D7006C 0DB2C57A
	v_mfma_i32_16x16x32_i8 v[108:111], a[124:125], v[100:101], v[108:111]// 000000004F5C: D3D7006C 0DB2C97C
	v_mfma_i32_16x16x32_i8 v[108:111], a[126:127], v[102:103], v[108:111]// 000000004F64: D3D7006C 0DB2CD7E
	s_nop 4                                                    // 000000004F6C: BF800004
	s_branch label_0DA8                                        // 000000004F70: BF820000

0000000000004f74 <label_0DA8>:
	v_mul_f32_e32 v112, v49, v112                              // 000000004F74: 0AE0E131
	v_mul_f32_e32 v113, v49, v113                              // 000000004F78: 0AE2E331
	v_mul_f32_e32 v114, v49, v114                              // 000000004F7C: 0AE4E531
	v_mul_f32_e32 v115, v49, v115                              // 000000004F80: 0AE6E731
	v_or_b32_dpp v104, v108, v104 row_shr:8 row_mask:0xf bank_mask:0xf bound_ctrl:1// 000000004F84: 28D0D0FA FF09186C
	v_or_b32_dpp v105, v109, v105 row_shr:8 row_mask:0xf bank_mask:0xf bound_ctrl:1// 000000004F8C: 28D2D2FA FF09186D
	v_or_b32_dpp v106, v110, v106 row_shr:8 row_mask:0xf bank_mask:0xf bound_ctrl:1// 000000004F94: 28D4D4FA FF09186E
	v_or_b32_dpp v107, v111, v107 row_shr:8 row_mask:0xf bank_mask:0xf bound_ctrl:1// 000000004F9C: 28D6D6FA FF09186F
	v_cvt_f32_i32_e32 v104, v104                               // 000000004FA4: 7ED00B68
	v_cvt_f32_i32_e32 v105, v105                               // 000000004FA8: 7ED20B69
	v_cvt_f32_i32_e32 v106, v106                               // 000000004FAC: 7ED40B6A
	v_cvt_f32_i32_e32 v107, v107                               // 000000004FB0: 7ED60B6B
	v_mul_f32_e32 v104, v47, v104                              // 000000004FB4: 0AD0D12F
	v_mul_f32_e32 v105, v47, v105                              // 000000004FB8: 0AD2D32F
	v_mul_f32_e32 v106, v47, v106                              // 000000004FBC: 0AD4D52F
	v_mul_f32_e32 v107, v47, v107                              // 000000004FC0: 0AD6D72F
	v_add_f32_e32 v112, v112, v104                             // 000000004FC4: 02E0D170
	v_add_f32_e32 v113, v113, v105                             // 000000004FC8: 02E2D371
	v_add_f32_e32 v114, v114, v106                             // 000000004FCC: 02E4D572
	v_add_f32_e32 v115, v115, v107                             // 000000004FD0: 02E6D773
	ds_write_b32 v11, v42 offset:4224                          // 000000004FD4: D81A1080 00002A0B
	s_waitcnt lgkmcnt(0)                                       // 000000004FDC: BF8CC07F
	s_barrier                                                  // 000000004FE0: BF8A0000
	ds_read_b32 v64, v10 offset:4224                           // 000000004FE4: D86C1080 4000000A
	ds_read_b32 v65, v10 offset:4288                           // 000000004FEC: D86C10C0 4100000A
	ds_read_b32 v66, v10 offset:4352                           // 000000004FF4: D86C1100 4200000A
	ds_read_b32 v67, v10 offset:4416                           // 000000004FFC: D86C1140 4300000A
	ds_read_b32 v68, v10 offset:4480                           // 000000005004: D86C1180 4400000A
	ds_read_b32 v69, v10 offset:4544                           // 00000000500C: D86C11C0 4500000A
	ds_read_b32 v70, v10 offset:4608                           // 000000005014: D86C1200 4600000A
	ds_read_b32 v71, v10 offset:4672                           // 00000000501C: D86C1240 4700000A
	ds_read_b32 v72, v10 offset:4736                           // 000000005024: D86C1280 4800000A
	ds_read_b32 v73, v10 offset:4800                           // 00000000502C: D86C12C0 4900000A
	ds_read_b32 v74, v10 offset:4864                           // 000000005034: D86C1300 4A00000A
	ds_read_b32 v75, v10 offset:4928                           // 00000000503C: D86C1340 4B00000A
	ds_read_b32 v76, v10 offset:4992                           // 000000005044: D86C1380 4C00000A
	ds_read_b32 v77, v10 offset:5056                           // 00000000504C: D86C13C0 4D00000A
	ds_read_b32 v78, v10 offset:5120                           // 000000005054: D86C1400 4E00000A
	ds_read_b32 v79, v10 offset:5184                           // 00000000505C: D86C1440 4F00000A
	s_waitcnt lgkmcnt(0)                                       // 000000005064: BF8CC07F
	v_mov_b32_e32 v42, 0                                       // 000000005068: 7E540280
	v_add_f32_e32 v42, v64, v42                                // 00000000506C: 02545540
	v_add_f32_e32 v42, v65, v42                                // 000000005070: 02545541
	v_add_f32_e32 v42, v66, v42                                // 000000005074: 02545542
	;; [unrolled: 1-line block ×3, first 2 shown]
	v_add_f32_e32 v42, v68, v42                                // 00000000507C: 02545544
	v_add_f32_e32 v42, v69, v42                                // 000000005080: 02545545
	v_add_f32_e32 v42, v70, v42                                // 000000005084: 02545546
	;; [unrolled: 1-line block ×3, first 2 shown]
	v_add_f32_e32 v42, v72, v42                                // 00000000508C: 02545548
	v_add_f32_e32 v42, v73, v42                                // 000000005090: 02545549
	v_add_f32_e32 v42, v74, v42                                // 000000005094: 0254554A
	v_add_f32_e32 v42, v75, v42                                // 000000005098: 0254554B
	v_add_f32_e32 v42, v76, v42                                // 00000000509C: 0254554C
	v_add_f32_e32 v42, v77, v42                                // 0000000050A0: 0254554D
	v_add_f32_e32 v42, v78, v42                                // 0000000050A4: 0254554E
	v_add_f32_e32 v42, v79, v42                                // 0000000050A8: 0254554F
	s_nop 1                                                    // 0000000050AC: BF800001
	v_mov_b32_dpp v38, v42 row_ror:8 row_mask:0xf bank_mask:0xf// 0000000050B0: 7E4C02FA FF01282A
	v_add_f32_e32 v42, v42, v38                                // 0000000050B8: 02544D2A
	v_rcp_f32_e32 v42, v42                                     // 0000000050BC: 7E54452A
	s_nop 1                                                    // 0000000050C0: BF800001
	v_mul_f32_e32 v112, v42, v112                              // 0000000050C4: 0AE0E12A
	v_mul_f32_e32 v113, v42, v113                              // 0000000050C8: 0AE2E32A
	v_mul_f32_e32 v114, v42, v114                              // 0000000050CC: 0AE4E52A
	v_mul_f32_e32 v115, v42, v115                              // 0000000050D0: 0AE6E72A
	v_cvt_f16_f32_e32 v112, v112                               // 0000000050D4: 7EE01570
	v_cvt_f16_f32_sdwa v112, v113 dst_sel:WORD_1 dst_unused:UNUSED_PRESERVE src0_sel:DWORD// 0000000050D8: 7EE014F9 00061571
	v_cvt_f16_f32_e32 v113, v114                               // 0000000050E0: 7EE21572
	v_cvt_f16_f32_sdwa v113, v115 dst_sel:WORD_1 dst_unused:UNUSED_PRESERVE src0_sel:DWORD// 0000000050E4: 7EE214F9 00061573
	s_nop 1                                                    // 0000000050EC: BF800001
	v_mov_b32_dpp v114, v112 row_shl:8 row_mask:0xf bank_mask:0xf bound_ctrl:1// 0000000050F0: 7EE402FA FF090870
	v_and_b32_e32 v112, v112, v9                               // 0000000050F8: 26E01370
	v_mov_b32_dpp v115, v113 row_shl:8 row_mask:0xf bank_mask:0xf bound_ctrl:1// 0000000050FC: 7EE602FA FF090871
	v_and_b32_e32 v113, v113, v9                               // 000000005104: 26E21371
	v_lshrrev_b32_e32 v38, 4, v0                               // 000000005108: 204C0084
	v_mul_i32_i24_e32 v5, 34, v38                              // 00000000510C: 0C0A4CA2
	v_and_b32_e32 v38, 15, v0                                  // 000000005110: 264C008F
	v_mul_i32_i24_e32 v39, 2, v38                              // 000000005114: 0C4E4C82
	v_add_u32_e32 v5, v39, v5                                  // 000000005118: 680A0B27
	s_mul_i32 s60, s7, 0x88                                    // 00000000511C: 923CFF07 00000088
	v_add_u32_e32 v5, s60, v5                                  // 000000005124: 680A0A3C
	v_lshlrev_b32_e32 v5, 2, v5                                // 000000005128: 240A0A82
	ds_write_b64 v5, v[112:113] offset:10368                   // 00000000512C: D89A2880 00007005
	ds_write_b64 v5, v[114:115] offset:12544                   // 000000005134: D89A3100 00007205
	v_lshrrev_b32_e32 v38, 1, v0                               // 00000000513C: 204C0081
	v_mul_i32_i24_e32 v5, 34, v38                              // 000000005140: 0C0A4CA2
	v_and_b32_e32 v39, 1, v0                                   // 000000005144: 264E0081
	v_add_u32_e32 v5, v39, v5                                  // 000000005148: 680A0B27
	s_mul_i32 s60, s7, 2                                       // 00000000514C: 923C8207
	v_add_u32_e32 v5, s60, v5                                  // 000000005150: 680A0A3C
	v_lshlrev_b32_e32 v5, 2, v5                                // 000000005154: 240A0A82
	s_waitcnt lgkmcnt(0)                                       // 000000005158: BF8CC07F
	s_barrier                                                  // 00000000515C: BF8A0000
	ds_read_b32 v112, v5 offset:10368                          // 000000005160: D86C2880 70000005
	ds_read_b32 v113, v5 offset:10400                          // 000000005168: D86C28A0 71000005
	s_waitcnt lgkmcnt(0)                                       // 000000005170: BF8CC07F
	buffer_store_dword v112, v8, s[8:11], 0 offen              // 000000005174: E0701000 80027008
	buffer_store_dword v113, v8, s[8:11], 0 offen offset:1024  // 00000000517C: E0701400 80027108
	s_waitcnt vmcnt(0) expcnt(0) lgkmcnt(0)                    // 000000005184: BF8C0000
	s_endpgm                                                   // 000000005188: BF810000
